;; amdgpu-corpus repo=ROCm/aiter kind=harvested arch=n/a opt=n/a

/root/src/amdgpu-assembly/repos/ROCm__aiter/hsa/gfx950/fmha_v3_bwd/bwd_hd192_bf16_causal_br_a32_rtz_psskddv.co:	file format elf64-amdgpu

Disassembly of section .text:

0000000000004000 <_ZN5aiter55fmha_bwd_hd192_bf16_causal_br_a32_rtz_psskddv_recompileE>:
	s_and_b32 s1, s1, 0xffff                                   // 000000004000: 8601FF01 0000FFFF
	s_load_dwordx2 s[32:33], s[0:1], 0x0                       // 000000004008: C0060800 00000000
	s_load_dwordx2 s[36:37], s[0:1], 0x10                      // 000000004010: C0060900 00000010
	s_load_dwordx2 s[40:41], s[0:1], 0x20                      // 000000004018: C0060A00 00000020
	s_load_dwordx2 s[8:9], s[0:1], 0x30                        // 000000004020: C0060200 00000030
	s_load_dwordx2 s[12:13], s[0:1], 0x40                      // 000000004028: C0060300 00000040
	s_load_dwordx2 s[16:17], s[0:1], 0x50                      // 000000004030: C0060400 00000050
	s_load_dwordx2 s[20:21], s[0:1], 0x60                      // 000000004038: C0060500 00000060
	s_load_dwordx2 s[24:25], s[0:1], 0x70                      // 000000004040: C0060600 00000070
	s_load_dwordx2 s[28:29], s[0:1], 0x80                      // 000000004048: C0060700 00000080
	s_load_dword s47, s[0:1], 0x90                             // 000000004050: C0020BC0 00000090
	s_load_dword s48, s[0:1], 0xa0                             // 000000004058: C0020C00 000000A0
	s_load_dword s49, s[0:1], 0xb0                             // 000000004060: C0020C40 000000B0
	s_load_dword s78, s[0:1], 0xd0                             // 000000004068: C0021380 000000D0
	s_load_dword s79, s[0:1], 0xe0                             // 000000004070: C00213C0 000000E0
	s_load_dword s5, s[0:1], 0xf0                              // 000000004078: C0020140 000000F0
	s_load_dword s44, s[0:1], 0x100                            // 000000004080: C0020B00 00000100
	s_load_dword s80, s[0:1], 0x110                            // 000000004088: C0021400 00000110
	s_load_dword s81, s[0:1], 0x120                            // 000000004090: C0021440 00000120
	s_load_dword s6, s[0:1], 0x130                             // 000000004098: C0020180 00000130
	s_load_dword s52, s[0:1], 0x140                            // 0000000040A0: C0020D00 00000140
	s_load_dword s50, s[0:1], 0x150                            // 0000000040A8: C0020C80 00000150
	s_load_dword s98, s[0:1], 0x160                            // 0000000040B0: C0021880 00000160
	s_load_dword s72, s[0:1], 0x180                            // 0000000040B8: C0021200 00000180
	s_load_dword s90, s[0:1], 0x190                            // 0000000040C0: C0021680 00000190
	s_load_dword s91, s[0:1], 0x1a0                            // 0000000040C8: C00216C0 000001A0
	s_load_dword s7, s[0:1], 0x1b0                             // 0000000040D0: C00201C0 000001B0
	s_load_dword s92, s[0:1], 0x1c0                            // 0000000040D8: C0021700 000001C0
	s_load_dword s93, s[0:1], 0x1d0                            // 0000000040E0: C0021740 000001D0
	s_load_dword s51, s[0:1], 0x1e0                            // 0000000040E8: C0020CC0 000001E0
	s_load_dword s94, s[0:1], 0x1f0                            // 0000000040F0: C0021780 000001F0
	s_load_dword s95, s[0:1], 0x200                            // 0000000040F8: C00217C0 00000200
	s_load_dword s96, s[0:1], 0x210                            // 000000004100: C0021800 00000210
	s_load_dword s97, s[0:1], 0x220                            // 000000004108: C0021840 00000220
	s_load_dword s53, s[0:1], 0x230                            // 000000004110: C0020D40 00000230
	v_lshrrev_b32_e32 v1, 10, v0                               // 000000004118: 2002008A
	v_lshrrev_b32_e32 v2, 10, v1                               // 00000000411C: 2004028A
	v_and_b32_e32 v2, 0x3ff, v2                                // 000000004120: 260404FF 000003FF
	v_and_b32_e32 v1, 0x3ff, v1                                // 000000004128: 260202FF 000003FF
	v_and_b32_e32 v0, 0x3ff, v0                                // 000000004130: 260000FF 000003FF
	v_lshrrev_b32_e32 v3, 6, v0                                // 000000004138: 20060086
	v_and_b32_e32 v0, 63, v0                                   // 00000000413C: 260000BF
	s_mov_b32 s2, s2                                           // 000000004140: BE820002
	s_mov_b32 s3, s3                                           // 000000004144: BE830003
	s_mov_b32 s4, s4                                           // 000000004148: BE840004
	v_readfirstlane_b32 s46, v3                                // 00000000414C: 7E5C0503
	s_waitcnt lgkmcnt(0)                                       // 000000004150: BF8CC07F
	s_mov_b32 s11, 0x20000                                     // 000000004154: BE8B00FF 00020000
	s_mov_b32 s15, 0x20000                                     // 00000000415C: BE8F00FF 00020000
	s_mov_b32 s19, 0x20000                                     // 000000004164: BE9300FF 00020000
	s_mov_b32 s23, 0x20000                                     // 00000000416C: BE9700FF 00020000
	s_mov_b32 s27, 0x20000                                     // 000000004174: BE9B00FF 00020000
	s_mov_b32 s31, 0x20000                                     // 00000000417C: BE9F00FF 00020000
	s_mov_b32 s35, 0x20000                                     // 000000004184: BEA300FF 00020000
	s_mov_b32 s39, 0x20000                                     // 00000000418C: BEA700FF 00020000
	s_mov_b32 s43, 0x20000                                     // 000000004194: BEAB00FF 00020000
	s_and_b32 s9, s9, 0xffff                                   // 00000000419C: 8609FF09 0000FFFF
	s_and_b32 s13, s13, 0xffff                                 // 0000000041A4: 860DFF0D 0000FFFF
	s_and_b32 s17, s17, 0xffff                                 // 0000000041AC: 8611FF11 0000FFFF
	s_and_b32 s21, s21, 0xffff                                 // 0000000041B4: 8615FF15 0000FFFF
	s_and_b32 s25, s25, 0xffff                                 // 0000000041BC: 8619FF19 0000FFFF
	s_and_b32 s29, s29, 0xffff                                 // 0000000041C4: 861DFF1D 0000FFFF
	s_and_b32 s33, s33, 0xffff                                 // 0000000041CC: 8621FF21 0000FFFF
	s_and_b32 s37, s37, 0xffff                                 // 0000000041D4: 8625FF25 0000FFFF
	s_and_b32 s41, s41, 0xffff                                 // 0000000041DC: 8629FF29 0000FFFF
	s_or_b32 s9, s9, 0x40000                                   // 0000000041E4: 8709FF09 00040000
	s_or_b32 s13, s13, 0x40000                                 // 0000000041EC: 870DFF0D 00040000
	s_or_b32 s17, s17, 0x40000                                 // 0000000041F4: 8711FF11 00040000
	s_or_b32 s21, s21, 0x40000                                 // 0000000041FC: 8715FF15 00040000
	s_or_b32 s25, s25, 0x40000                                 // 000000004204: 8719FF19 00040000
	s_or_b32 s29, s29, 0x40000                                 // 00000000420C: 871DFF1D 00040000
	s_or_b32 s33, s33, 0x40000                                 // 000000004214: 8721FF21 00040000
	s_or_b32 s37, s37, 0x40000                                 // 00000000421C: 8725FF25 00040000
	s_or_b32 s41, s41, 0x40000                                 // 000000004224: 8729FF29 00040000
	v_accvgpr_write_b32 a143, 0                                // 00000000422C: D3D9408F 18000080
	v_mov_b32_e32 v214, 0                                      // 000000004234: 7FAC0280
	s_mov_b32 s71, s3                                          // 000000004238: BEC70003
	v_cvt_f32_u32_e32 v28, s44                                 // 00000000423C: 7E380C2C
	s_sub_i32 s60, 0, s44                                      // 000000004240: 81BC2C80
	v_rcp_iflag_f32_e32 v28, v28                               // 000000004244: 7E38471C
	s_nop 0                                                    // 000000004248: BF800000
	v_mul_f32_e32 v28, 0x4f7ffffe, v28                         // 00000000424C: 0A3838FF 4F7FFFFE
	v_cvt_u32_f32_e32 v28, v28                                 // 000000004254: 7E380F1C
	v_mul_lo_u32 v29, s60, v28                                 // 000000004258: D285001D 0002383C
	v_mul_hi_u32 v29, v28, v29                                 // 000000004260: D286001D 00023B1C
	v_add_u32_e32 v28, v28, v29                                // 000000004268: 68383B1C
	v_mul_hi_u32 v28, s71, v28                                 // 00000000426C: D286001C 00023847
	v_mul_lo_u32 v29, v28, s44                                 // 000000004274: D285001D 0000591C
	v_sub_u32_e32 v31, s71, v29                                // 00000000427C: 6A3E3A47
	v_add_u32_e32 v30, 1, v28                                  // 000000004280: 683C3881
	v_cmp_le_u32_e32 vcc, s44, v31                             // 000000004284: 7D963E2C
	v_subrev_u32_e32 v29, s44, v31                             // 000000004288: 6C3A3E2C
	s_nop 0                                                    // 00000000428C: BF800000
	v_cndmask_b32_e32 v28, v28, v30, vcc                       // 000000004290: 00383D1C
	v_cndmask_b32_e32 v31, v31, v29, vcc                       // 000000004294: 003E3B1F
	v_add_u32_e32 v29, 1, v28                                  // 000000004298: 683A3881
	v_cmp_le_u32_e32 vcc, s44, v31                             // 00000000429C: 7D963E2C
	s_nop 1                                                    // 0000000042A0: BF800001
	v_cndmask_b32_e32 v31, v28, v29, vcc                       // 0000000042A4: 003E3B1C
	s_nop 3                                                    // 0000000042A8: BF800003
	v_readfirstlane_b32 s45, v31                               // 0000000042AC: 7E5A051F
	s_nop 3                                                    // 0000000042B0: BF800003
	s_mul_i32 s61, s45, s80                                    // 0000000042B4: 923D502D
	s_mov_b32 s54, s61                                         // 0000000042B8: BEB6003D
	s_add_u32 s12, s54, s12                                    // 0000000042BC: 800C0C36
	s_addc_u32 s13, 0, s13                                     // 0000000042C0: 820D0D80
	s_mul_i32 s60, s4, s81                                     // 0000000042C4: 923C5104
	s_mul_hi_u32 s61, s4, s81                                  // 0000000042C8: 963D5104
	s_and_b32 s61, s61, 0xffff                                 // 0000000042CC: 863DFF3D 0000FFFF
	s_add_u32 s12, s12, s60                                    // 0000000042D4: 800C3C0C
	s_addc_u32 s13, s13, s61                                   // 0000000042D8: 820D3D0D
	s_mul_i32 s61, s45, s90                                    // 0000000042DC: 923D5A2D
	s_mov_b32 s54, s61                                         // 0000000042E0: BEB6003D
	s_add_u32 s16, s54, s16                                    // 0000000042E4: 80101036
	s_addc_u32 s17, 0, s17                                     // 0000000042E8: 82111180
	s_mul_i32 s60, s4, s91                                     // 0000000042EC: 923C5B04
	s_mul_hi_u32 s61, s4, s91                                  // 0000000042F0: 963D5B04
	s_and_b32 s61, s61, 0xffff                                 // 0000000042F4: 863DFF3D 0000FFFF
	s_add_u32 s16, s16, s60                                    // 0000000042FC: 80103C10
	s_addc_u32 s17, s17, s61                                   // 000000004300: 82113D11
	s_mul_i32 s61, s3, s78                                     // 000000004304: 923D4E03
	s_mov_b32 s55, s61                                         // 000000004308: BEB7003D
	s_add_u32 s8, s55, s8                                      // 00000000430C: 80080837
	s_addc_u32 s9, 0, s9                                       // 000000004310: 82090980
	s_mul_i32 s60, s4, s79                                     // 000000004314: 923C4F04
	s_mul_hi_u32 s61, s4, s79                                  // 000000004318: 963D4F04
	s_and_b32 s61, s61, 0xffff                                 // 00000000431C: 863DFF3D 0000FFFF
	s_add_u32 s8, s8, s60                                      // 000000004324: 80083C08
	s_addc_u32 s9, s9, s61                                     // 000000004328: 82093D09
	s_mul_i32 s61, s3, s92                                     // 00000000432C: 923D5C03
	s_mov_b32 s56, s61                                         // 000000004330: BEB8003D
	s_add_u32 s20, s56, s20                                    // 000000004334: 80141438
	s_addc_u32 s21, 0, s21                                     // 000000004338: 82151580
	s_mul_i32 s60, s4, s93                                     // 00000000433C: 923C5D04
	s_mul_hi_u32 s61, s4, s93                                  // 000000004340: 963D5D04
	s_and_b32 s61, s61, 0xffff                                 // 000000004344: 863DFF3D 0000FFFF
	s_add_u32 s20, s20, s60                                    // 00000000434C: 80143C14
	s_addc_u32 s21, s21, s61                                   // 000000004350: 82153D15
	s_mul_i32 s62, s4, s72                                     // 000000004354: 923E4804
	s_mul_i32 s62, s62, s49                                    // 000000004358: 923E313E
	s_lshl_b32 s62, s62, 2                                     // 00000000435C: 8E3E823E
	s_mul_i32 s61, s3, s49                                     // 000000004360: 923D3103
	s_mul_i32 s61, 4, s61                                      // 000000004364: 923D3D84
	s_add_u32 s65, s61, s62                                    // 000000004368: 80413E3D
	s_mov_b32 s26, s49                                         // 00000000436C: BE9A0031
	s_mov_b32 s30, s49                                         // 000000004370: BE9E0031
	s_add_u32 s24, s65, s24                                    // 000000004374: 80181841
	s_addc_u32 s25, 0, s25                                     // 000000004378: 82191980
	s_add_u32 s28, s65, s28                                    // 00000000437C: 801C1C41
	s_addc_u32 s29, 0, s29                                     // 000000004380: 821D1D80
	s_mul_i32 s61, s3, s94                                     // 000000004384: 923D5E03
	s_mul_i32 s62, s4, s95                                     // 000000004388: 923E5F04
	s_add_u32 s60, s61, s62                                    // 00000000438C: 803C3E3D
	s_mul_hi_u32 s61, s4, s95                                  // 000000004390: 963D5F04
	s_and_b32 s61, s61, 0xffff                                 // 000000004394: 863DFF3D 0000FFFF
	s_add_u32 s36, s60, s36                                    // 00000000439C: 8024243C
	s_addc_u32 s37, s61, s37                                   // 0000000043A0: 8225253D
	s_mul_i32 s60, s50, s52                                    // 0000000043A4: 923C3432
	s_lshr_b32 s60, s60, 2                                     // 0000000043A8: 8F3C823C
	s_mov_b32 s38, s60                                         // 0000000043AC: BEA6003C
	s_mul_i32 s61, s3, s96                                     // 0000000043B0: 923D6003
	s_mul_i32 s62, s4, s97                                     // 0000000043B4: 923E6104
	s_add_u32 s60, s61, s62                                    // 0000000043B8: 803C3E3D
	s_mul_hi_u32 s61, s4, s97                                  // 0000000043BC: 963D6104
	s_and_b32 s61, s61, 0xffff                                 // 0000000043C0: 863DFF3D 0000FFFF
	s_add_u32 s40, s60, s40                                    // 0000000043C8: 8028283C
	s_addc_u32 s41, s61, s41                                   // 0000000043CC: 8229293D
	s_mul_i32 s60, s50, s53                                    // 0000000043D0: 923C3532
	s_lshr_b32 s60, s60, 2                                     // 0000000043D4: 8F3C823C
	s_mov_b32 s42, s60                                         // 0000000043D8: BEAA003C
	s_mul_i32 s60, s98, s65                                    // 0000000043DC: 923C4162
	s_mul_hi_u32 s62, s98, s65                                 // 0000000043E0: 963E4162
	s_and_b32 s62, s62, 0xffff                                 // 0000000043E4: 863EFF3E 0000FFFF
	s_add_u32 s32, s60, s32                                    // 0000000043EC: 8020203C
	s_addc_u32 s33, s62, s33                                   // 0000000043F0: 8221213E
	s_mul_i32 s60, s98, s49                                    // 0000000043F4: 923C3162
	s_lshl_b32 s60, s60, 2                                     // 0000000043F8: 8E3C823C
	s_mov_b32 s34, s60                                         // 0000000043FC: BEA2003C
	s_mov_b32 s82, s8                                          // 000000004400: BED20008
	s_mov_b32 s84, s12                                         // 000000004404: BED4000C
	s_mov_b32 s86, s16                                         // 000000004408: BED60010
	s_mov_b32 s88, s20                                         // 00000000440C: BED80014
	s_mov_b32 s83, s9                                          // 000000004410: BED30009
	s_mov_b32 s85, s13                                         // 000000004414: BED5000D
	s_mov_b32 s87, s17                                         // 000000004418: BED70011
	s_mov_b32 s89, s21                                         // 00000000441C: BED90015
	s_add_u32 s71, 63, s50                                     // 000000004420: 804732BF
	s_mov_b32 s74, 64                                          // 000000004424: BECA00C0
	v_cvt_f32_u32_e32 v28, s74                                 // 000000004428: 7E380C4A
	s_sub_i32 s60, 0, s74                                      // 00000000442C: 81BC4A80
	v_rcp_iflag_f32_e32 v28, v28                               // 000000004430: 7E38471C
	s_nop 0                                                    // 000000004434: BF800000
	v_mul_f32_e32 v28, 0x4f7ffffe, v28                         // 000000004438: 0A3838FF 4F7FFFFE
	v_cvt_u32_f32_e32 v28, v28                                 // 000000004440: 7E380F1C
	v_mul_lo_u32 v29, s60, v28                                 // 000000004444: D285001D 0002383C
	v_mul_hi_u32 v29, v28, v29                                 // 00000000444C: D286001D 00023B1C
	v_add_u32_e32 v28, v28, v29                                // 000000004454: 68383B1C
	v_mul_hi_u32 v28, s71, v28                                 // 000000004458: D286001C 00023847
	v_mul_lo_u32 v29, v28, s74                                 // 000000004460: D285001D 0000951C
	v_sub_u32_e32 v31, s71, v29                                // 000000004468: 6A3E3A47
	v_add_u32_e32 v30, 1, v28                                  // 00000000446C: 683C3881
	v_cmp_le_u32_e32 vcc, s74, v31                             // 000000004470: 7D963E4A
	v_subrev_u32_e32 v29, s74, v31                             // 000000004474: 6C3A3E4A
	s_nop 0                                                    // 000000004478: BF800000
	v_cndmask_b32_e32 v28, v28, v30, vcc                       // 00000000447C: 00383D1C
	v_cndmask_b32_e32 v31, v31, v29, vcc                       // 000000004480: 003E3B1F
	v_add_u32_e32 v29, 1, v28                                  // 000000004484: 683A3881
	v_cmp_le_u32_e32 vcc, s74, v31                             // 000000004488: 7D963E4A
	s_nop 1                                                    // 00000000448C: BF800001
	v_cndmask_b32_e32 v31, v28, v29, vcc                       // 000000004490: 003E3B1C
	s_nop 3                                                    // 000000004494: BF800003
	v_readfirstlane_b32 s77, v31                               // 000000004498: 7E9A051F
	s_nop 3                                                    // 00000000449C: BF800003
	v_mov_b32_e32 v28, s47                                     // 0000000044A0: 7E38022F
	v_mul_f32_e32 v28, s48, v28                                // 0000000044A4: 0A383830
	s_mov_b32 s58, s49                                         // 0000000044A8: BEBA0031
	s_mov_b32 s59, 0                                           // 0000000044AC: BEBB0080
	s_mov_b32 s63, 0x5040100                                   // 0000000044B0: BEBF00FF 05040100
	s_mov_b32 s64, 0x7060302                                   // 0000000044B8: BEC000FF 07060302
	v_readfirstlane_b32 s57, v28                               // 0000000044C0: 7E72051C
	v_mov_b32_e32 v30, 0x3020706                               // 0000000044C4: 7E3C02FF 03020706
	v_mov_b32_e32 v28, s63                                     // 0000000044CC: 7E38023F
	v_and_b32_e32 v29, 1, v0                                   // 0000000044D0: 263A0081
	v_cmp_eq_u32_e32 vcc, 1, v29                               // 0000000044D4: 7D943A81
	s_mul_i32 s60, s98, 64                                     // 0000000044D8: 923CC062
	s_mov_b32 s67, s60                                         // 0000000044DC: BEC3003C
	v_cndmask_b32_e32 v15, v28, v30, vcc                       // 0000000044E0: 001E3D1C
	v_mov_b32_e32 v209, 0xffff0000                             // 0000000044E4: 7FA202FF FFFF0000
	v_mov_b32_e32 v210, 0x7fff0000                             // 0000000044EC: 7FA402FF 7FFF0000
	v_mov_b32_e32 v211, 0x7fff                                 // 0000000044F4: 7FA602FF 00007FFF
	s_cmp_lt_u32 s46, 2                                        // 0000000044FC: BF0A822E
	s_cselect_b32 s24, s24, s28                                // 000000004500: 85181C18
	s_cselect_b32 s25, s25, s29                                // 000000004504: 85191D19
	s_cselect_b32 s26, s26, s30                                // 000000004508: 851A1E1A
	s_cselect_b32 s27, s27, s31                                // 00000000450C: 851B1F1B
	s_lshr_b32 s60, s46, 1                                     // 000000004510: 8F3C812E
	s_lshl_b32 s60, s60, 8                                     // 000000004514: 8E3C883C
	s_add_u32 s80, 0x9f00, s60                                 // 000000004518: 80503CFF 00009F00
	s_add_u32 s81, 0x200, s80                                  // 000000004520: 805150FF 00000200
	s_mov_b32 s75, 0                                           // 000000004528: BECB0080
	s_mov_b32 s76, 1                                           // 00000000452C: BECC0081
	s_lshl_b32 s60, s2, 1                                      // 000000004530: 8E3C8102
	s_add_u32 s60, 1, s60                                      // 000000004534: 803C3C81
	s_cmp_ge_i32 s60, s77                                      // 000000004538: BF034D3C
	s_cselect_b32 s76, s76, 2                                  // 00000000453C: 854C824C
	v_lshrrev_b32_e32 v28, 2, v0                               // 000000004540: 20380082
	v_and_b32_e32 v29, 3, v28                                  // 000000004544: 263A3883
	v_lshrrev_b32_e32 v30, 3, v28                              // 000000004548: 203C3883
	v_lshlrev_b32_e32 v30, 2, v30                              // 00000000454C: 243C3C82
	v_add_u32_e32 v28, v30, v29                                // 000000004550: 68383B1E
	v_mov_b32_e32 v30, s98                                     // 000000004554: 7E3C0262
	v_mov_b32_e32 v29, 0x80                                    // 000000004558: 7E3A02FF 00000080
	v_sub_u32_e32 v30, v30, v29                                // 000000004560: 6A3C3B1E
	v_lshrrev_b32_e32 v30, 3, v30                              // 000000004564: 203C3C83
	v_cmp_lt_u32_e64 s[90:91], v28, v30                        // 000000004568: D0C9005A 00023D1C
	v_and_b32_e32 v28, 31, v0                                  // 000000004570: 2638009F
	v_lshrrev_b32_e32 v28, 3, v28                              // 000000004574: 20383883
	v_mov_b32_e32 v29, s98                                     // 000000004578: 7E3A0262
	v_mov_b32_e32 v30, 0x80                                    // 00000000457C: 7E3C02FF 00000080
	v_sub_u32_e32 v29, v29, v30                                // 000000004584: 6A3A3D1D
	v_lshrrev_b32_e32 v29, 3, v29                              // 000000004588: 203A3A83
	v_cmp_lt_u32_e64 s[94:95], v28, v29                        // 00000000458C: D0C9005E 00023B1C
	v_add_u32_e32 v28, 4, v28                                  // 000000004594: 68383884
	v_cmp_lt_u32_e64 s[96:97], v28, v29                        // 000000004598: D0C90060 00023B1C

00000000000045a0 <label_0168>:
	s_mov_b32 m0, s80                                          // 0000000045A0: BEFC0050
	s_mov_b32 s66, 0                                           // 0000000045A4: BEC20080
	v_mov_b32_e32 v159, 0xff800000                             // 0000000045A8: 7F3E02FF FF800000
	s_mov_b32 s74, 0                                           // 0000000045B0: BECA0080
	s_mul_i32 s68, 4, s5                                       // 0000000045B4: 92440584
	s_mul_i32 s99, 4, s51                                      // 0000000045B8: 92633384
	s_mov_b32 s69, 16                                          // 0000000045BC: BEC50090
	s_mul_i32 s45, 64, s2                                      // 0000000045C0: 922D02C0
	s_sub_i32 s60, s50, s49                                    // 0000000045C4: 81BC3132
	s_sub_i32 s71, s45, s60                                    // 0000000045C8: 81C73C2D
	s_cmp_ge_i32 s71, 0                                        // 0000000045CC: BF038047
	s_cselect_b32 s59, s71, 0                                  // 0000000045D0: 853B8047
	s_add_i32 s60, s71, 64                                     // 0000000045D4: 813CC047
	s_cmp_le_i32 s60, 0                                        // 0000000045D8: BF05803C
	s_cbranch_scc0 label_017A                                  // 0000000045DC: BF840002
	s_mov_b32 s44, 0                                           // 0000000045E0: BEAC0080
	s_branch label_0186                                        // 0000000045E4: BF82000C

00000000000045e8 <label_017A>:
	s_mov_b32 s44, 1                                           // 0000000045E8: BEAC0081
	s_sub_i32 s60, s59, s71                                    // 0000000045EC: 81BC473B
	v_lshrrev_b32_e32 v28, 4, v0                               // 0000000045F0: 20380084
	v_mul_i32_i24_e32 v28, 4, v28                              // 0000000045F4: 0C383884
	v_add_i32 v28, v28, s60                                    // 0000000045F8: D29C001C 0000791C
	v_and_b32_e32 v29, 15, v0                                  // 000000004600: 263A008F
	v_mul_i32_i24_e64 v30, s46, 16                             // 000000004604: D106001E 0001202E
	v_add_u32_e32 v29, v29, v30                                // 00000000460C: 683A3D1D
	v_sub_i32 v214, v29, v28                                   // 000000004610: D29D00D6 0002391D

0000000000004618 <label_0186>:
	s_mul_i32 s54, s6, s45                                     // 000000004618: 92362D06
	s_sub_i32 s61, s50, s45                                    // 00000000461C: 81BD2D32
	s_mul_i32 s62, s6, s61                                     // 000000004620: 923E3D06
	s_lshr_b32 s62, s62, 2                                     // 000000004624: 8F3E823E
	s_mov_b32 s14, s62                                         // 000000004628: BE8E003E
	s_add_u32 s12, s54, s84                                    // 00000000462C: 800C5436
	s_addc_u32 s13, 0, s85                                     // 000000004630: 820D5580
	s_mul_i32 s54, s7, s45                                     // 000000004634: 92362D07
	s_mul_i32 s62, s7, s61                                     // 000000004638: 923E3D07
	s_lshr_b32 s62, s62, 2                                     // 00000000463C: 8F3E823E
	s_mov_b32 s18, s62                                         // 000000004640: BE92003E
	s_add_u32 s16, s54, s86                                    // 000000004644: 80105636
	s_addc_u32 s17, 0, s87                                     // 000000004648: 82115780
	s_mov_b32 s71, s6                                          // 00000000464C: BEC70006
	v_lshrrev_b32_e32 v28, 4, v0                               // 000000004650: 20380084
	v_and_b32_e32 v29, 1, v28                                  // 000000004654: 263A3881
	v_lshlrev_b32_e32 v29, 1, v29                              // 000000004658: 243A3A81
	v_mul_i32_i24_e32 v29, s71, v29                            // 00000000465C: 0C3A3A47
	v_and_b32_e32 v30, 2, v28                                  // 000000004660: 263C3882
	v_lshlrev_b32_e32 v30, 5, v30                              // 000000004664: 243C3C85
	v_add_u32_e32 v29, v30, v29                                // 000000004668: 683A3B1E
	v_and_b32_e32 v28, 15, v0                                  // 00000000466C: 2638008F
	v_lshlrev_b32_e32 v28, 2, v28                              // 000000004670: 24383882
	v_add_u32_e32 v1, v28, v29                                 // 000000004674: 68023B1C
	s_mul_i32 s60, s46, s71                                    // 000000004678: 923C472E
	s_mul_i32 s60, s60, 4                                      // 00000000467C: 923C843C
	v_add_u32_e32 v1, s60, v1                                  // 000000004680: 6802023C
	v_add_u32_e32 v2, s71, v1                                  // 000000004684: 68040247
	s_mov_b32 s71, s7                                          // 000000004688: BEC70007
	v_lshrrev_b32_e32 v28, 4, v0                               // 00000000468C: 20380084
	v_and_b32_e32 v29, 1, v28                                  // 000000004690: 263A3881
	v_lshlrev_b32_e32 v29, 1, v29                              // 000000004694: 243A3A81
	v_mul_i32_i24_e32 v29, s71, v29                            // 000000004698: 0C3A3A47
	v_and_b32_e32 v30, 2, v28                                  // 00000000469C: 263C3882
	v_lshlrev_b32_e32 v30, 5, v30                              // 0000000046A0: 243C3C85
	v_add_u32_e32 v29, v30, v29                                // 0000000046A4: 683A3B1E
	v_and_b32_e32 v28, 15, v0                                  // 0000000046A8: 2638008F
	v_lshlrev_b32_e32 v28, 2, v28                              // 0000000046AC: 24383882
	v_add_u32_e32 v212, v28, v29                               // 0000000046B0: 69A83B1C
	s_mul_i32 s60, s46, s71                                    // 0000000046B4: 923C472E
	s_mul_i32 s60, s60, 4                                      // 0000000046B8: 923C843C
	v_add_u32_e32 v212, s60, v212                              // 0000000046BC: 69A9A83C
	v_add_u32_e32 v213, s71, v212                              // 0000000046C0: 69ABA847
	v_lshrrev_b32_e32 v1, 2, v1                                // 0000000046C4: 20020282
	v_lshrrev_b32_e32 v2, 2, v2                                // 0000000046C8: 20040482
	v_lshrrev_b32_e32 v212, 2, v212                            // 0000000046CC: 21A9A882
	v_lshrrev_b32_e32 v213, 2, v213                            // 0000000046D0: 21ABAA82
	s_mov_b32 s70, s52                                         // 0000000046D4: BEC60034
	v_lshrrev_b32_e32 v28, 3, v0                               // 0000000046D8: 20380083
	v_mul_i32_i24_e32 v3, s70, v28                             // 0000000046DC: 0C063846
	v_lshrrev_b32_e32 v3, 2, v3                                // 0000000046E0: 20060682
	v_and_b32_e32 v28, 7, v0                                   // 0000000046E4: 26380087
	v_lshlrev_b32_e32 v29, 2, v28                              // 0000000046E8: 243A3882
	v_add_u32_e32 v3, v29, v3                                  // 0000000046EC: 6806071D
	s_mul_i32 s60, 16, s70                                     // 0000000046F0: 923C4690
	s_mul_i32 s60, s46, s60                                    // 0000000046F4: 923C3C2E
	v_lshlrev_b32_e32 v3, 2, v3                                // 0000000046F8: 24060682
	v_add_u32_e32 v3, s60, v3                                  // 0000000046FC: 6806063C
	s_mul_i32 s60, 8, s70                                      // 000000004700: 923C4688
	v_add_u32_e32 v4, s60, v3                                  // 000000004704: 6808063C
	s_mul_i32 s60, s52, s45                                    // 000000004708: 923C2D34
	v_add_u32_e32 v3, s60, v3                                  // 00000000470C: 6806063C
	v_lshrrev_b32_e32 v3, 2, v3                                // 000000004710: 20060682
	v_add_u32_e32 v4, s60, v4                                  // 000000004714: 6808083C
	v_lshrrev_b32_e32 v4, 2, v4                                // 000000004718: 20080882
	s_mov_b32 s70, s53                                         // 00000000471C: BEC60035
	v_lshrrev_b32_e32 v28, 3, v0                               // 000000004720: 20380083
	v_mul_i32_i24_e32 v5, s70, v28                             // 000000004724: 0C0A3846
	v_lshrrev_b32_e32 v5, 2, v5                                // 000000004728: 200A0A82
	v_and_b32_e32 v28, 7, v0                                   // 00000000472C: 26380087
	v_lshlrev_b32_e32 v29, 2, v28                              // 000000004730: 243A3882
	v_add_u32_e32 v5, v29, v5                                  // 000000004734: 680A0B1D
	s_mul_i32 s60, 16, s70                                     // 000000004738: 923C4690
	s_mul_i32 s60, s46, s60                                    // 00000000473C: 923C3C2E
	v_lshlrev_b32_e32 v5, 2, v5                                // 000000004740: 240A0A82
	v_add_u32_e32 v5, s60, v5                                  // 000000004744: 680A0A3C
	s_mul_i32 s60, 8, s70                                      // 000000004748: 923C4688
	v_add_u32_e32 v6, s60, v5                                  // 00000000474C: 680C0A3C
	s_mul_i32 s60, s53, s45                                    // 000000004750: 923C2D35
	v_add_u32_e32 v5, s60, v5                                  // 000000004754: 680A0A3C
	v_lshrrev_b32_e32 v5, 2, v5                                // 000000004758: 200A0A82
	v_add_u32_e32 v6, s60, v6                                  // 00000000475C: 680C0C3C
	v_lshrrev_b32_e32 v6, 2, v6                                // 000000004760: 200C0C82
	s_cmp_ge_i32 s59, s49                                      // 000000004764: BF03313B
	s_cselect_b32 s59, s49, s59                                // 000000004768: 853B3B31
	s_add_u32 s73, 16, s59                                     // 00000000476C: 80493B90
	s_mul_i32 s55, s5, s59                                     // 000000004770: 92373B05
	s_sub_i32 s61, s49, s59                                    // 000000004774: 81BD3B31
	s_mul_i32 s62, s5, s61                                     // 000000004778: 923E3D05
	s_lshr_b32 s62, s62, 2                                     // 00000000477C: 8F3E823E
	s_mov_b32 s10, s62                                         // 000000004780: BE8A003E
	s_add_u32 s8, s55, s82                                     // 000000004784: 80085237
	s_addc_u32 s9, 0, s83                                      // 000000004788: 82095380
	s_mul_i32 s56, s51, s59                                    // 00000000478C: 92383B33
	s_mul_i32 s62, s51, s61                                    // 000000004790: 923E3D33
	s_lshr_b32 s62, s62, 2                                     // 000000004794: 8F3E823E
	s_mov_b32 s22, s62                                         // 000000004798: BE96003E
	s_add_u32 s20, s56, s88                                    // 00000000479C: 80145838
	s_addc_u32 s21, 0, s89                                     // 0000000047A0: 82155980
	s_mul_i32 s65, s59, 4                                      // 0000000047A4: 9241843B
	v_and_b32_e32 v9, 15, v0                                   // 0000000047A8: 2612008F
	v_lshlrev_b32_e32 v9, 2, v9                                // 0000000047AC: 24121282
	v_add_u32_e32 v9, s65, v9                                  // 0000000047B0: 68121241
	v_lshrrev_b32_e32 v9, 2, v9                                // 0000000047B4: 20121282
	v_lshrrev_b32_e32 v28, 5, v0                               // 0000000047B8: 20380085
	v_mul_i32_i24_e64 v29, s98, 2                              // 0000000047BC: D106001D 00010462
	v_mul_i32_i24_e32 v7, v29, v28                             // 0000000047C4: 0C0E391D
	v_and_b32_e32 v28, 31, v0                                  // 0000000047C8: 2638009F
	v_add_u32_e32 v7, v28, v7                                  // 0000000047CC: 680E0F1C
	s_mul_i32 s60, 4, s98                                      // 0000000047D0: 923C6284
	s_mul_i32 s60, s46, s60                                    // 0000000047D4: 923C3C2E
	v_add_u32_e32 v7, s60, v7                                  // 0000000047D8: 680E0E3C
	v_lshlrev_b32_e32 v7, 2, v7                                // 0000000047DC: 240E0E82
	v_mul_i32_i24_e32 v29, 2, v29                              // 0000000047E0: 0C3A3A82
	v_add_u32_e32 v8, v29, v7                                  // 0000000047E4: 68100F1D
	s_mul_i32 s60, s98, s65                                    // 0000000047E8: 923C4162
	v_add_u32_e32 v7, s60, v7                                  // 0000000047EC: 680E0E3C
	v_add_u32_e32 v8, s60, v8                                  // 0000000047F0: 6810103C
	s_mul_i32 s60, 64, s2                                      // 0000000047F4: 923C02C0
	s_sub_i32 s100, s50, s60                                   // 0000000047F8: 81E43C32
	v_and_b32_e32 v28, 31, v0                                  // 0000000047FC: 2638009F
	v_lshrrev_b32_e32 v28, 1, v28                              // 000000004800: 20383881
	v_and_b32_e32 v29, 1, v28                                  // 000000004804: 263A3881
	v_lshlrev_b32_e32 v29, 4, v29                              // 000000004808: 243A3A84
	v_and_b32_e32 v30, 2, v28                                  // 00000000480C: 263C3882
	v_lshlrev_b32_e32 v30, 2, v30                              // 000000004810: 243C3C82
	v_add_u32_e32 v29, v30, v29                                // 000000004814: 683A3B1E
	v_and_b32_e32 v30, 12, v28                                 // 000000004818: 263C388C
	v_lshrrev_b32_e32 v30, 1, v30                              // 00000000481C: 203C3C81
	v_add_u32_e32 v29, v30, v29                                // 000000004820: 683A3B1E
	v_lshrrev_b32_e32 v28, 5, v0                               // 000000004824: 20380085
	v_mul_i32_i24_e32 v30, 0x80, v28                           // 000000004828: 0C3C38FF 00000080
	v_add_u32_e32 v29, v30, v29                                // 000000004830: 683A3B1E
	v_and_b32_e32 v30, 1, v0                                   // 000000004834: 263C0081
	v_add_u32_e32 v11, v30, v29                                // 000000004838: 68163B1E
	s_mul_i32 s60, s46, 32                                     // 00000000483C: 923CA02E
	v_add_u32_e32 v11, s60, v11                                // 000000004840: 6816163C
	v_lshlrev_b32_e32 v11, 2, v11                              // 000000004844: 24161682
	v_lshrrev_b32_e32 v28, 4, v0                               // 000000004848: 20380084
	v_and_b32_e32 v29, 1, v28                                  // 00000000484C: 263A3881
	v_lshlrev_b32_e32 v29, 4, v29                              // 000000004850: 243A3A84
	v_and_b32_e32 v30, 2, v28                                  // 000000004854: 263C3882
	v_mul_i32_i24_e32 v30, 4, v30                              // 000000004858: 0C3C3C84
	v_add_u32_e32 v29, v30, v29                                // 00000000485C: 683A3B1E
	v_and_b32_e32 v28, 15, v0                                  // 000000004860: 2638008F
	v_lshrrev_b32_e32 v30, 2, v28                              // 000000004864: 203C3882
	v_lshlrev_b32_e32 v30, 5, v30                              // 000000004868: 243C3C85
	v_add_u32_e32 v29, v30, v29                                // 00000000486C: 683A3B1E
	v_and_b32_e32 v28, 3, v0                                   // 000000004870: 26380083
	v_and_b32_e32 v30, 1, v28                                  // 000000004874: 263C3881
	v_mul_i32_i24_e32 v30, 0x108, v30                          // 000000004878: 0C3C3CFF 00000108
	v_add_u32_e32 v29, v30, v29                                // 000000004880: 683A3B1E
	v_and_b32_e32 v30, 2, v28                                  // 000000004884: 263C3882
	v_lshlrev_b32_e32 v30, 1, v30                              // 000000004888: 243C3C81
	v_add_u32_e32 v10, v30, v29                                // 00000000488C: 68143B1E
	v_lshlrev_b32_e32 v10, 2, v10                              // 000000004890: 24141482
	s_mul_i32 s60, s46, 0x1980                                 // 000000004894: 923CFF2E 00001980
	v_add_u32_e32 v22, s60, v10                                // 00000000489C: 682C143C
	v_lshrrev_b32_e32 v28, 5, v0                               // 0000000048A0: 20380085
	v_mul_i32_i24_e32 v13, 0x80, v28                           // 0000000048A4: 0C1A38FF 00000080
	v_and_b32_e32 v28, 31, v0                                  // 0000000048AC: 2638009F
	v_and_b32_e32 v29, 7, v28                                  // 0000000048B0: 263A3887
	v_and_b32_e32 v30, 1, v29                                  // 0000000048B4: 263C3A81
	v_lshlrev_b32_e32 v30, 2, v30                              // 0000000048B8: 243C3C82
	v_add_u32_e32 v13, v30, v13                                // 0000000048BC: 681A1B1E
	v_and_b32_e32 v30, 2, v29                                  // 0000000048C0: 263C3A82
	v_lshlrev_b32_e32 v30, 3, v30                              // 0000000048C4: 243C3C83
	v_add_u32_e32 v13, v30, v13                                // 0000000048C8: 681A1B1E
	v_and_b32_e32 v30, 4, v29                                  // 0000000048CC: 263C3A84
	v_lshlrev_b32_e32 v30, 1, v30                              // 0000000048D0: 243C3C81
	v_add_u32_e32 v13, v30, v13                                // 0000000048D4: 681A1B1E
	v_lshrrev_b32_e32 v29, 3, v28                              // 0000000048D8: 203A3883
	v_and_b32_e32 v30, 1, v29                                  // 0000000048DC: 263C3A81
	v_lshlrev_b32_e32 v30, 1, v30                              // 0000000048E0: 243C3C81
	v_add_u32_e32 v13, v30, v13                                // 0000000048E4: 681A1B1E
	v_and_b32_e32 v30, 2, v29                                  // 0000000048E8: 263C3A82
	v_lshrrev_b32_e32 v30, 1, v30                              // 0000000048EC: 203C3C81
	v_add_u32_e32 v13, v30, v13                                // 0000000048F0: 681A1B1E
	s_mul_i32 s60, s46, 32                                     // 0000000048F4: 923CA02E
	v_add_u32_e32 v13, s60, v13                                // 0000000048F8: 681A1A3C
	v_lshlrev_b32_e32 v13, 2, v13                              // 0000000048FC: 241A1A82
	v_and_b32_e32 v28, 15, v0                                  // 000000004900: 2638008F
	v_and_b32_e32 v30, 1, v28                                  // 000000004904: 263C3881
	v_mul_i32_i24_e32 v12, 0x108, v30                          // 000000004908: 0C183CFF 00000108
	v_and_b32_e32 v30, 2, v28                                  // 000000004910: 263C3882
	v_lshlrev_b32_e32 v30, 1, v30                              // 000000004914: 243C3C81
	v_add_u32_e32 v12, v30, v12                                // 000000004918: 6818191E
	v_and_b32_e32 v30, 4, v28                                  // 00000000491C: 263C3884
	v_lshlrev_b32_e32 v30, 2, v30                              // 000000004920: 243C3C82
	v_add_u32_e32 v12, v30, v12                                // 000000004924: 6818191E
	v_and_b32_e32 v30, 8, v28                                  // 000000004928: 263C3888
	v_add_u32_e32 v12, v30, v12                                // 00000000492C: 6818191E
	v_lshrrev_b32_e32 v28, 4, v0                               // 000000004930: 20380084
	v_and_b32_e32 v30, 1, v28                                  // 000000004934: 263C3881
	v_lshlrev_b32_e32 v30, 5, v30                              // 000000004938: 243C3C85
	v_add_u32_e32 v12, v30, v12                                // 00000000493C: 6818191E
	v_and_b32_e32 v29, 2, v28                                  // 000000004940: 263A3882
	v_mul_i32_i24_e32 v30, 32, v29                             // 000000004944: 0C3C3AA0
	v_add_u32_e32 v12, v30, v12                                // 000000004948: 6818191E
	v_lshlrev_b32_e32 v12, 2, v12                              // 00000000494C: 24181882
	v_lshrrev_b32_e32 v28, 4, v0                               // 000000004950: 20380084
	v_mul_i32_i24_e32 v21, 4, v28                              // 000000004954: 0C2A3884
	v_and_b32_e32 v29, 3, v0                                   // 000000004958: 263A0083
	v_add_u32_e32 v21, v29, v21                                // 00000000495C: 682A2B1D
	v_lshlrev_b32_e32 v21, 2, v21                              // 000000004960: 242A2A82
	v_lshrrev_b32_e32 v28, 5, v0                               // 000000004964: 20380085
	v_mul_i32_i24_e32 v26, 0x104, v28                          // 000000004968: 0C3438FF 00000104
	v_and_b32_e32 v28, 31, v0                                  // 000000004970: 2638009F
	v_and_b32_e32 v29, 7, v28                                  // 000000004974: 263A3887
	v_lshlrev_b32_e32 v30, 2, v29                              // 000000004978: 243C3A82
	v_add_u32_e32 v26, v30, v26                                // 00000000497C: 6834351E
	v_lshrrev_b32_e32 v29, 3, v28                              // 000000004980: 203A3883
	v_and_b32_e32 v30, 1, v29                                  // 000000004984: 263C3A81
	v_mul_i32_i24_e32 v30, 0x82, v30                           // 000000004988: 0C3C3CFF 00000082
	v_add_u32_e32 v26, v30, v26                                // 000000004990: 6834351E
	v_and_b32_e32 v30, 2, v29                                  // 000000004994: 263C3A82
	v_lshrrev_b32_e32 v30, 1, v30                              // 000000004998: 203C3C81
	v_add_u32_e32 v26, v30, v26                                // 00000000499C: 6834351E
	s_mul_i32 s60, s46, 32                                     // 0000000049A0: 923CA02E
	v_add_u32_e32 v26, s60, v26                                // 0000000049A4: 6834343C
	v_lshlrev_b32_e32 v26, 2, v26                              // 0000000049A8: 24343482
	v_lshrrev_b32_e32 v28, 5, v0                               // 0000000049AC: 20380085
	v_mul_i32_i24_e32 v23, 0x618, v28                          // 0000000049B0: 0C2E38FF 00000618
	v_and_b32_e32 v28, 31, v0                                  // 0000000049B8: 2638009F
	v_lshlrev_b32_e32 v28, 1, v28                              // 0000000049BC: 24383881
	v_add_u32_e32 v23, v28, v23                                // 0000000049C0: 682E2F1C
	s_mul_i32 s60, s46, 0x186                                  // 0000000049C4: 923CFF2E 00000186
	v_add_u32_e32 v23, s60, v23                                // 0000000049CC: 682E2E3C
	v_lshlrev_b32_e32 v23, 2, v23                              // 0000000049D0: 242E2E82
	v_lshrrev_b32_e32 v28, 4, v0                               // 0000000049D4: 20380084
	v_and_b32_e32 v29, 1, v28                                  // 0000000049D8: 263A3881
	v_mul_i32_i24_e32 v19, 0x100, v29                          // 0000000049DC: 0C263AFF 00000100
	v_and_b32_e32 v29, 2, v28                                  // 0000000049E4: 263A3882
	v_mul_i32_i24_e32 v29, 64, v29                             // 0000000049E8: 0C3A3AC0
	v_add_u32_e32 v19, v29, v19                                // 0000000049EC: 6826271D
	v_and_b32_e32 v28, 15, v0                                  // 0000000049F0: 2638008F
	v_mul_i32_i24_e32 v29, 2, v28                              // 0000000049F4: 0C3A3882
	v_add_u32_e32 v19, v29, v19                                // 0000000049F8: 6826271D
	s_mul_i32 s60, s46, 32                                     // 0000000049FC: 923CA02E
	v_add_u32_e32 v19, s60, v19                                // 000000004A00: 6826263C
	v_lshlrev_b32_e32 v19, 2, v19                              // 000000004A04: 24262682
	v_lshlrev_b32_e32 v20, 1, v0                               // 000000004A08: 24280081
	s_mul_i32 s60, s46, 0x300                                  // 000000004A0C: 923CFF2E 00000300
	v_add_u32_e32 v20, s60, v20                                // 000000004A14: 6828283C
	v_lshlrev_b32_e32 v20, 2, v20                              // 000000004A18: 24282882
	v_lshrrev_b32_e32 v28, 5, v0                               // 000000004A1C: 20380085
	v_mul_i32_i24_e32 v17, 64, v28                             // 000000004A20: 0C2238C0
	v_and_b32_e32 v28, 31, v0                                  // 000000004A24: 2638009F
	v_and_b32_e32 v28, 3, v28                                  // 000000004A28: 26383883
	v_and_b32_e32 v29, 1, v28                                  // 000000004A2C: 263A3881
	v_mul_i32_i24_e32 v29, 4, v29                              // 000000004A30: 0C3A3A84
	v_add_u32_e32 v17, v29, v17                                // 000000004A34: 6822231D
	v_and_b32_e32 v29, 2, v28                                  // 000000004A38: 263A3882
	v_mul_i32_i24_e32 v29, 0x44, v29                           // 000000004A3C: 0C3A3AFF 00000044
	v_add_u32_e32 v17, v29, v17                                // 000000004A44: 6822231D
	v_and_b32_e32 v28, 31, v0                                  // 000000004A48: 2638009F
	v_lshrrev_b32_e32 v28, 2, v28                              // 000000004A4C: 20383882
	v_lshrrev_b32_e32 v30, 2, v28                              // 000000004A50: 203C3882
	v_mul_i32_i24_e32 v29, 16, v30                             // 000000004A54: 0C3A3C90
	v_add_u32_e32 v17, v29, v17                                // 000000004A58: 6822231D
	v_and_b32_e32 v29, 2, v28                                  // 000000004A5C: 263A3882
	v_lshlrev_b32_e32 v29, 4, v29                              // 000000004A60: 243A3A84
	v_add_u32_e32 v17, v29, v17                                // 000000004A64: 6822231D
	v_and_b32_e32 v29, 1, v28                                  // 000000004A68: 263A3881
	v_xor_b32_e32 v29, v30, v29                                // 000000004A6C: 2A3A3B1E
	v_mul_i32_i24_e32 v29, 8, v29                              // 000000004A70: 0C3A3A88
	v_add_u32_e32 v17, v29, v17                                // 000000004A74: 6822231D
	v_lshlrev_b32_e32 v17, 2, v17                              // 000000004A78: 24222282
	v_lshrrev_b32_e32 v28, 5, v0                               // 000000004A7C: 20380085
	v_mul_i32_i24_e32 v18, 32, v28                             // 000000004A80: 0C2438A0
	v_and_b32_e32 v28, 31, v0                                  // 000000004A84: 2638009F
	v_and_b32_e32 v28, 3, v28                                  // 000000004A88: 26383883
	v_and_b32_e32 v29, 1, v28                                  // 000000004A8C: 263A3881
	v_mul_i32_i24_e32 v29, 4, v29                              // 000000004A90: 0C3A3A84
	v_add_u32_e32 v18, v29, v18                                // 000000004A94: 6824251D
	v_and_b32_e32 v29, 2, v28                                  // 000000004A98: 263A3882
	v_lshrrev_b32_e32 v29, 1, v29                              // 000000004A9C: 203A3A81
	v_add_u32_e32 v18, v29, v18                                // 000000004AA0: 6824251D
	v_and_b32_e32 v28, 31, v0                                  // 000000004AA4: 2638009F
	v_lshrrev_b32_e32 v28, 2, v28                              // 000000004AA8: 20383882
	v_and_b32_e32 v30, 1, v28                                  // 000000004AAC: 263C3881
	v_mul_i32_i24_e32 v29, 16, v30                             // 000000004AB0: 0C3A3C90
	v_add_u32_e32 v18, v29, v18                                // 000000004AB4: 6824251D
	v_and_b32_e32 v29, 2, v28                                  // 000000004AB8: 263A3882
	v_add_u32_e32 v18, v29, v18                                // 000000004ABC: 6824251D
	v_lshrrev_b32_e32 v29, 2, v28                              // 000000004AC0: 203A3882
	v_xor_b32_e32 v29, v30, v29                                // 000000004AC4: 2A3A3B1E
	v_mul_i32_i24_e32 v29, 8, v29                              // 000000004AC8: 0C3A3A88
	v_add_u32_e32 v18, v29, v18                                // 000000004ACC: 6824251D
	s_and_b32 s60, 1, s46                                      // 000000004AD0: 863C2E81
	s_mul_i32 s60, s60, 64                                     // 000000004AD4: 923CC03C
	s_lshr_b32 s61, s46, 1                                     // 000000004AD8: 8F3D812E
	s_mul_i32 s61, s61, 0x120                                  // 000000004ADC: 923DFF3D 00000120
	s_add_u32 s60, s60, s61                                    // 000000004AE4: 803C3D3C
	v_add_u32_e32 v18, s60, v18                                // 000000004AE8: 6824243C
	v_lshlrev_b32_e32 v18, 2, v18                              // 000000004AEC: 24242482
	buffer_load_dword v160, v1, s[12:15], 0 idxen              // 000000004AF0: E0502000 8003A001
	buffer_load_dword v161, v2, s[12:15], 0 idxen              // 000000004AF8: E0502000 8003A102
	buffer_load_dword v162, v1, s[12:15], 0 idxen offset:128   // 000000004B00: E0502080 8003A201
	buffer_load_dword v163, v2, s[12:15], 0 idxen offset:128   // 000000004B08: E0502080 8003A302
	v_mov_b32_e32 v164, 0                                      // 000000004B10: 7F480280
	s_mov_b64 exec, s[90:91]                                   // 000000004B14: BEFE015A
	buffer_load_dword v164, v1, s[12:15], 0 idxen offset:256   // 000000004B18: E0502100 8003A401
	s_mov_b32 exec_lo, -1                                      // 000000004B20: BEFE00C1
	s_mov_b32 exec_hi, -1                                      // 000000004B24: BEFF00C1
	v_mov_b32_e32 v165, 0                                      // 000000004B28: 7F4A0280
	s_mov_b64 exec, s[90:91]                                   // 000000004B2C: BEFE015A
	buffer_load_dword v165, v2, s[12:15], 0 idxen offset:256   // 000000004B30: E0502100 8003A502
	s_mov_b32 exec_lo, -1                                      // 000000004B38: BEFE00C1
	s_mov_b32 exec_hi, -1                                      // 000000004B3C: BEFF00C1
	s_mul_i32 s60, 4, s6                                       // 000000004B40: 923C0684
	v_add_u32_e32 v1, s60, v1                                  // 000000004B44: 6802023C
	v_add_u32_e32 v2, s60, v2                                  // 000000004B48: 6804043C
	buffer_load_dword v166, v1, s[12:15], 0 idxen              // 000000004B4C: E0502000 8003A601
	buffer_load_dword v167, v2, s[12:15], 0 idxen              // 000000004B54: E0502000 8003A702
	buffer_load_dword v168, v1, s[12:15], 0 idxen offset:128   // 000000004B5C: E0502080 8003A801
	buffer_load_dword v169, v2, s[12:15], 0 idxen offset:128   // 000000004B64: E0502080 8003A902
	v_mov_b32_e32 v170, 0                                      // 000000004B6C: 7F540280
	s_mov_b64 exec, s[90:91]                                   // 000000004B70: BEFE015A
	buffer_load_dword v170, v1, s[12:15], 0 idxen offset:256   // 000000004B74: E0502100 8003AA01
	s_mov_b32 exec_lo, -1                                      // 000000004B7C: BEFE00C1
	s_mov_b32 exec_hi, -1                                      // 000000004B80: BEFF00C1
	v_mov_b32_e32 v171, 0                                      // 000000004B84: 7F560280
	s_mov_b64 exec, s[90:91]                                   // 000000004B88: BEFE015A
	buffer_load_dword v171, v2, s[12:15], 0 idxen offset:256   // 000000004B8C: E0502100 8003AB02
	s_mov_b32 exec_lo, -1                                      // 000000004B94: BEFE00C1
	s_mov_b32 exec_hi, -1                                      // 000000004B98: BEFF00C1
	s_mul_i32 s60, 4, s6                                       // 000000004B9C: 923C0684
	v_add_u32_e32 v1, s60, v1                                  // 000000004BA0: 6802023C
	v_add_u32_e32 v2, s60, v2                                  // 000000004BA4: 6804043C
	buffer_load_dword v172, v1, s[12:15], 0 idxen              // 000000004BA8: E0502000 8003AC01
	buffer_load_dword v173, v2, s[12:15], 0 idxen              // 000000004BB0: E0502000 8003AD02
	buffer_load_dword v174, v1, s[12:15], 0 idxen offset:128   // 000000004BB8: E0502080 8003AE01
	buffer_load_dword v175, v2, s[12:15], 0 idxen offset:128   // 000000004BC0: E0502080 8003AF02
	v_mov_b32_e32 v176, 0                                      // 000000004BC8: 7F600280
	s_mov_b64 exec, s[90:91]                                   // 000000004BCC: BEFE015A
	buffer_load_dword v176, v1, s[12:15], 0 idxen offset:256   // 000000004BD0: E0502100 8003B001
	s_mov_b32 exec_lo, -1                                      // 000000004BD8: BEFE00C1
	s_mov_b32 exec_hi, -1                                      // 000000004BDC: BEFF00C1
	v_mov_b32_e32 v177, 0                                      // 000000004BE0: 7F620280
	s_mov_b64 exec, s[90:91]                                   // 000000004BE4: BEFE015A
	buffer_load_dword v177, v2, s[12:15], 0 idxen offset:256   // 000000004BE8: E0502100 8003B102
	s_mov_b32 exec_lo, -1                                      // 000000004BF0: BEFE00C1
	s_mov_b32 exec_hi, -1                                      // 000000004BF4: BEFF00C1
	s_mul_i32 s60, 4, s6                                       // 000000004BF8: 923C0684
	v_add_u32_e32 v1, s60, v1                                  // 000000004BFC: 6802023C
	v_add_u32_e32 v2, s60, v2                                  // 000000004C00: 6804043C
	buffer_load_dword v178, v1, s[12:15], 0 idxen              // 000000004C04: E0502000 8003B201
	buffer_load_dword v179, v2, s[12:15], 0 idxen              // 000000004C0C: E0502000 8003B302
	buffer_load_dword v180, v1, s[12:15], 0 idxen offset:128   // 000000004C14: E0502080 8003B401
	buffer_load_dword v181, v2, s[12:15], 0 idxen offset:128   // 000000004C1C: E0502080 8003B502
	v_mov_b32_e32 v182, 0                                      // 000000004C24: 7F6C0280
	s_mov_b64 exec, s[90:91]                                   // 000000004C28: BEFE015A
	buffer_load_dword v182, v1, s[12:15], 0 idxen offset:256   // 000000004C2C: E0502100 8003B601
	s_mov_b32 exec_lo, -1                                      // 000000004C34: BEFE00C1
	s_mov_b32 exec_hi, -1                                      // 000000004C38: BEFF00C1
	v_mov_b32_e32 v183, 0                                      // 000000004C3C: 7F6E0280
	s_mov_b64 exec, s[90:91]                                   // 000000004C40: BEFE015A
	buffer_load_dword v183, v2, s[12:15], 0 idxen offset:256   // 000000004C44: E0502100 8003B702
	s_mov_b32 exec_lo, -1                                      // 000000004C4C: BEFE00C1
	s_mov_b32 exec_hi, -1                                      // 000000004C50: BEFF00C1
	s_mul_i32 s60, 4, s6                                       // 000000004C54: 923C0684
	v_add_u32_e32 v1, s60, v1                                  // 000000004C58: 6802023C
	v_add_u32_e32 v2, s60, v2                                  // 000000004C5C: 6804043C
	s_waitcnt vmcnt(0) lgkmcnt(0)                              // 000000004C60: BF8C0070
	s_barrier                                                  // 000000004C64: BF8A0000
	v_perm_b32 v184, v161, v160, s63                           // 000000004C68: D1ED00B8 00FF41A1
	v_perm_b32 v185, v161, v160, s64                           // 000000004C70: D1ED00B9 010341A1
	v_perm_b32 v186, v163, v162, s63                           // 000000004C78: D1ED00BA 00FF45A3
	v_perm_b32 v187, v163, v162, s64                           // 000000004C80: D1ED00BB 010345A3
	v_perm_b32 v188, v165, v164, s63                           // 000000004C88: D1ED00BC 00FF49A5
	v_perm_b32 v189, v165, v164, s64                           // 000000004C90: D1ED00BD 010349A5
	v_perm_b32 v190, v167, v166, s63                           // 000000004C98: D1ED00BE 00FF4DA7
	v_perm_b32 v191, v167, v166, s64                           // 000000004CA0: D1ED00BF 01034DA7
	v_perm_b32 v192, v169, v168, s63                           // 000000004CA8: D1ED00C0 00FF51A9
	v_perm_b32 v193, v169, v168, s64                           // 000000004CB0: D1ED00C1 010351A9
	v_perm_b32 v194, v171, v170, s63                           // 000000004CB8: D1ED00C2 00FF55AB
	v_perm_b32 v195, v171, v170, s64                           // 000000004CC0: D1ED00C3 010355AB
	v_perm_b32 v196, v173, v172, s63                           // 000000004CC8: D1ED00C4 00FF59AD
	v_perm_b32 v197, v173, v172, s64                           // 000000004CD0: D1ED00C5 010359AD
	v_perm_b32 v198, v175, v174, s63                           // 000000004CD8: D1ED00C6 00FF5DAF
	v_perm_b32 v199, v175, v174, s64                           // 000000004CE0: D1ED00C7 01035DAF
	v_perm_b32 v200, v177, v176, s63                           // 000000004CE8: D1ED00C8 00FF61B1
	v_perm_b32 v201, v177, v176, s64                           // 000000004CF0: D1ED00C9 010361B1
	v_perm_b32 v202, v179, v178, s63                           // 000000004CF8: D1ED00CA 00FF65B3
	v_perm_b32 v203, v179, v178, s64                           // 000000004D00: D1ED00CB 010365B3
	v_perm_b32 v204, v181, v180, s63                           // 000000004D08: D1ED00CC 00FF69B5
	v_perm_b32 v205, v181, v180, s64                           // 000000004D10: D1ED00CD 010369B5
	v_perm_b32 v206, v183, v182, s63                           // 000000004D18: D1ED00CE 00FF6DB7
	v_perm_b32 v207, v183, v182, s64                           // 000000004D20: D1ED00CF 01036DB7
	ds_write_b32 v26, v184 offset:26112                        // 000000004D28: D81A6600 0000B81A
	ds_write_b32 v26, v185 offset:26120                        // 000000004D30: D81A6608 0000B91A
	ds_write_b32 v26, v186 offset:28192                        // 000000004D38: D81A6E20 0000BA1A
	ds_write_b32 v26, v187 offset:28200                        // 000000004D40: D81A6E28 0000BB1A
	ds_write_b32 v26, v188 offset:30272                        // 000000004D48: D81A7640 0000BC1A
	ds_write_b32 v26, v189 offset:30280                        // 000000004D50: D81A7648 0000BD1A
	ds_write_b32 v26, v190 offset:32352                        // 000000004D58: D81A7E60 0000BE1A
	ds_write_b32 v26, v191 offset:32360                        // 000000004D60: D81A7E68 0000BF1A
	ds_write_b32 v26, v192 offset:34432                        // 000000004D68: D81A8680 0000C01A
	ds_write_b32 v26, v193 offset:34440                        // 000000004D70: D81A8688 0000C11A
	ds_write_b32 v26, v194 offset:36512                        // 000000004D78: D81A8EA0 0000C21A
	ds_write_b32 v26, v195 offset:36520                        // 000000004D80: D81A8EA8 0000C31A
	ds_write_b32 v26, v196 offset:38592                        // 000000004D88: D81A96C0 0000C41A
	ds_write_b32 v26, v197 offset:38600                        // 000000004D90: D81A96C8 0000C51A
	ds_write_b32 v26, v198 offset:40672                        // 000000004D98: D81A9EE0 0000C61A
	ds_write_b32 v26, v199 offset:40680                        // 000000004DA0: D81A9EE8 0000C71A
	ds_write_b32 v26, v200 offset:42752                        // 000000004DA8: D81AA700 0000C81A
	ds_write_b32 v26, v201 offset:42760                        // 000000004DB0: D81AA708 0000C91A
	ds_write_b32 v26, v202 offset:44832                        // 000000004DB8: D81AAF20 0000CA1A
	ds_write_b32 v26, v203 offset:44840                        // 000000004DC0: D81AAF28 0000CB1A
	ds_write_b32 v26, v204 offset:46912                        // 000000004DC8: D81AB740 0000CC1A
	ds_write_b32 v26, v205 offset:46920                        // 000000004DD0: D81AB748 0000CD1A
	ds_write_b32 v26, v206 offset:48992                        // 000000004DD8: D81ABF60 0000CE1A
	ds_write_b32 v26, v207 offset:49000                        // 000000004DE0: D81ABF68 0000CF1A
	ds_write_b32 v11, v160                                     // 000000004DE8: D81A0000 0000A00B
	ds_write_b32 v11, v161 offset:1056                         // 000000004DF0: D81A0420 0000A10B
	ds_write_b32 v11, v162 offset:2176                         // 000000004DF8: D81A0880 0000A20B
	ds_write_b32 v11, v163 offset:3232                         // 000000004E00: D81A0CA0 0000A30B
	ds_write_b32 v11, v164 offset:4352                         // 000000004E08: D81A1100 0000A40B
	ds_write_b32 v11, v165 offset:5408                         // 000000004E10: D81A1520 0000A50B
	ds_write_b32 v11, v166 offset:6528                         // 000000004E18: D81A1980 0000A60B
	ds_write_b32 v11, v167 offset:7584                         // 000000004E20: D81A1DA0 0000A70B
	ds_write_b32 v11, v168 offset:8704                         // 000000004E28: D81A2200 0000A80B
	ds_write_b32 v11, v169 offset:9760                         // 000000004E30: D81A2620 0000A90B
	ds_write_b32 v11, v170 offset:10880                        // 000000004E38: D81A2A80 0000AA0B
	ds_write_b32 v11, v171 offset:11936                        // 000000004E40: D81A2EA0 0000AB0B
	ds_write_b32 v11, v172 offset:13056                        // 000000004E48: D81A3300 0000AC0B
	ds_write_b32 v11, v173 offset:14112                        // 000000004E50: D81A3720 0000AD0B
	ds_write_b32 v11, v174 offset:15232                        // 000000004E58: D81A3B80 0000AE0B
	ds_write_b32 v11, v175 offset:16288                        // 000000004E60: D81A3FA0 0000AF0B
	ds_write_b32 v11, v176 offset:17408                        // 000000004E68: D81A4400 0000B00B
	ds_write_b32 v11, v177 offset:18464                        // 000000004E70: D81A4820 0000B10B
	ds_write_b32 v11, v178 offset:19584                        // 000000004E78: D81A4C80 0000B20B
	ds_write_b32 v11, v179 offset:20640                        // 000000004E80: D81A50A0 0000B30B
	ds_write_b32 v11, v180 offset:21760                        // 000000004E88: D81A5500 0000B40B
	ds_write_b32 v11, v181 offset:22816                        // 000000004E90: D81A5920 0000B50B
	ds_write_b32 v11, v182 offset:23936                        // 000000004E98: D81A5D80 0000B60B
	ds_write_b32 v11, v183 offset:24992                        // 000000004EA0: D81A61A0 0000B70B
	s_waitcnt lgkmcnt(0)                                       // 000000004EA8: BF8CC07F
	s_barrier                                                  // 000000004EAC: BF8A0000
	buffer_load_dword v160, v212, s[16:19], 0 idxen            // 000000004EB0: E0502000 8004A0D4
	buffer_load_dword v161, v213, s[16:19], 0 idxen            // 000000004EB8: E0502000 8004A1D5
	buffer_load_dword v162, v212, s[16:19], 0 idxen offset:128 // 000000004EC0: E0502080 8004A2D4
	buffer_load_dword v163, v213, s[16:19], 0 idxen offset:128 // 000000004EC8: E0502080 8004A3D5
	v_mov_b32_e32 v164, 0                                      // 000000004ED0: 7F480280
	s_mov_b64 exec, s[90:91]                                   // 000000004ED4: BEFE015A
	buffer_load_dword v164, v212, s[16:19], 0 idxen offset:256 // 000000004ED8: E0502100 8004A4D4
	s_mov_b32 exec_lo, -1                                      // 000000004EE0: BEFE00C1
	s_mov_b32 exec_hi, -1                                      // 000000004EE4: BEFF00C1
	v_mov_b32_e32 v165, 0                                      // 000000004EE8: 7F4A0280
	s_mov_b64 exec, s[90:91]                                   // 000000004EEC: BEFE015A
	buffer_load_dword v165, v213, s[16:19], 0 idxen offset:256 // 000000004EF0: E0502100 8004A5D5
	s_mov_b32 exec_lo, -1                                      // 000000004EF8: BEFE00C1
	s_mov_b32 exec_hi, -1                                      // 000000004EFC: BEFF00C1
	s_mul_i32 s60, 4, s7                                       // 000000004F00: 923C0784
	v_add_u32_e32 v212, s60, v212                              // 000000004F04: 69A9A83C
	v_add_u32_e32 v213, s60, v213                              // 000000004F08: 69ABAA3C
	buffer_load_dword v166, v212, s[16:19], 0 idxen            // 000000004F0C: E0502000 8004A6D4
	buffer_load_dword v167, v213, s[16:19], 0 idxen            // 000000004F14: E0502000 8004A7D5
	buffer_load_dword v168, v212, s[16:19], 0 idxen offset:128 // 000000004F1C: E0502080 8004A8D4
	buffer_load_dword v169, v213, s[16:19], 0 idxen offset:128 // 000000004F24: E0502080 8004A9D5
	v_mov_b32_e32 v170, 0                                      // 000000004F2C: 7F540280
	s_mov_b64 exec, s[90:91]                                   // 000000004F30: BEFE015A
	buffer_load_dword v170, v212, s[16:19], 0 idxen offset:256 // 000000004F34: E0502100 8004AAD4
	s_mov_b32 exec_lo, -1                                      // 000000004F3C: BEFE00C1
	s_mov_b32 exec_hi, -1                                      // 000000004F40: BEFF00C1
	v_mov_b32_e32 v171, 0                                      // 000000004F44: 7F560280
	s_mov_b64 exec, s[90:91]                                   // 000000004F48: BEFE015A
	buffer_load_dword v171, v213, s[16:19], 0 idxen offset:256 // 000000004F4C: E0502100 8004ABD5
	s_mov_b32 exec_lo, -1                                      // 000000004F54: BEFE00C1
	s_mov_b32 exec_hi, -1                                      // 000000004F58: BEFF00C1
	s_mul_i32 s60, 4, s7                                       // 000000004F5C: 923C0784
	v_add_u32_e32 v212, s60, v212                              // 000000004F60: 69A9A83C
	v_add_u32_e32 v213, s60, v213                              // 000000004F64: 69ABAA3C
	buffer_load_dword v172, v212, s[16:19], 0 idxen            // 000000004F68: E0502000 8004ACD4
	buffer_load_dword v173, v213, s[16:19], 0 idxen            // 000000004F70: E0502000 8004ADD5
	buffer_load_dword v174, v212, s[16:19], 0 idxen offset:128 // 000000004F78: E0502080 8004AED4
	buffer_load_dword v175, v213, s[16:19], 0 idxen offset:128 // 000000004F80: E0502080 8004AFD5
	v_mov_b32_e32 v176, 0                                      // 000000004F88: 7F600280
	s_mov_b64 exec, s[90:91]                                   // 000000004F8C: BEFE015A
	buffer_load_dword v176, v212, s[16:19], 0 idxen offset:256 // 000000004F90: E0502100 8004B0D4
	s_mov_b32 exec_lo, -1                                      // 000000004F98: BEFE00C1
	s_mov_b32 exec_hi, -1                                      // 000000004F9C: BEFF00C1
	v_mov_b32_e32 v177, 0                                      // 000000004FA0: 7F620280
	s_mov_b64 exec, s[90:91]                                   // 000000004FA4: BEFE015A
	buffer_load_dword v177, v213, s[16:19], 0 idxen offset:256 // 000000004FA8: E0502100 8004B1D5
	s_mov_b32 exec_lo, -1                                      // 000000004FB0: BEFE00C1
	s_mov_b32 exec_hi, -1                                      // 000000004FB4: BEFF00C1
	s_mul_i32 s60, 4, s7                                       // 000000004FB8: 923C0784
	v_add_u32_e32 v212, s60, v212                              // 000000004FBC: 69A9A83C
	v_add_u32_e32 v213, s60, v213                              // 000000004FC0: 69ABAA3C
	buffer_load_dword v178, v212, s[16:19], 0 idxen            // 000000004FC4: E0502000 8004B2D4
	buffer_load_dword v179, v213, s[16:19], 0 idxen            // 000000004FCC: E0502000 8004B3D5
	buffer_load_dword v180, v212, s[16:19], 0 idxen offset:128 // 000000004FD4: E0502080 8004B4D4
	buffer_load_dword v181, v213, s[16:19], 0 idxen offset:128 // 000000004FDC: E0502080 8004B5D5
	v_mov_b32_e32 v182, 0                                      // 000000004FE4: 7F6C0280
	s_mov_b64 exec, s[90:91]                                   // 000000004FE8: BEFE015A
	buffer_load_dword v182, v212, s[16:19], 0 idxen offset:256 // 000000004FEC: E0502100 8004B6D4
	s_mov_b32 exec_lo, -1                                      // 000000004FF4: BEFE00C1
	s_mov_b32 exec_hi, -1                                      // 000000004FF8: BEFF00C1
	v_mov_b32_e32 v183, 0                                      // 000000004FFC: 7F6E0280
	s_mov_b64 exec, s[90:91]                                   // 000000005000: BEFE015A
	buffer_load_dword v183, v213, s[16:19], 0 idxen offset:256 // 000000005004: E0502100 8004B7D5
	s_mov_b32 exec_lo, -1                                      // 00000000500C: BEFE00C1
	s_mov_b32 exec_hi, -1                                      // 000000005010: BEFF00C1
	s_mul_i32 s60, 4, s7                                       // 000000005014: 923C0784
	v_add_u32_e32 v212, s60, v212                              // 000000005018: 69A9A83C
	v_add_u32_e32 v213, s60, v213                              // 00000000501C: 69ABAA3C
	ds_read_b64 a[24:25], v23 offset:26112                     // 000000005020: DAEC6600 18000017
	ds_read_b64 a[26:27], v23 offset:26632                     // 000000005028: DAEC6808 1A000017
	ds_read_b64 a[28:29], v23 offset:27152                     // 000000005030: DAEC6A10 1C000017
	ds_read_b64 a[30:31], v23 offset:26368                     // 000000005038: DAEC6700 1E000017
	ds_read_b64 a[32:33], v23 offset:26888                     // 000000005040: DAEC6908 20000017
	ds_read_b64 a[34:35], v23 offset:27408                     // 000000005048: DAEC6B10 22000017
	ds_read_b64 a[36:37], v23 offset:38592                     // 000000005050: DAEC96C0 24000017
	ds_read_b64 a[38:39], v23 offset:39112                     // 000000005058: DAEC98C8 26000017
	ds_read_b64 a[40:41], v23 offset:39632                     // 000000005060: DAEC9AD0 28000017
	ds_read_b64 a[42:43], v23 offset:38848                     // 000000005068: DAEC97C0 2A000017
	ds_read_b64 a[44:45], v23 offset:39368                     // 000000005070: DAEC99C8 2C000017
	ds_read_b64 a[46:47], v23 offset:39888                     // 000000005078: DAEC9BD0 2E000017
	ds_read_b128 a[0:3], v22                                   // 000000005080: DBFE0000 00000016
	ds_read_b128 a[4:7], v22 offset:512                        // 000000005088: DBFE0200 04000016
	ds_read_b128 a[8:11], v22 offset:2176                      // 000000005090: DBFE0880 08000016
	ds_read_b128 a[12:15], v22 offset:2688                     // 000000005098: DBFE0A80 0C000016
	ds_read_b128 a[16:19], v22 offset:4352                     // 0000000050A0: DBFE1100 10000016
	ds_read_b128 a[20:23], v22 offset:4864                     // 0000000050A8: DBFE1300 14000016
	s_waitcnt vmcnt(0) lgkmcnt(0)                              // 0000000050B0: BF8C0070
	s_barrier                                                  // 0000000050B4: BF8A0000
	ds_write_b32 v11, v160                                     // 0000000050B8: D81A0000 0000A00B
	ds_write_b32 v11, v161 offset:1056                         // 0000000050C0: D81A0420 0000A10B
	ds_write_b32 v11, v162 offset:2176                         // 0000000050C8: D81A0880 0000A20B
	ds_write_b32 v11, v163 offset:3232                         // 0000000050D0: D81A0CA0 0000A30B
	ds_write_b32 v11, v164 offset:4352                         // 0000000050D8: D81A1100 0000A40B
	ds_write_b32 v11, v165 offset:5408                         // 0000000050E0: D81A1520 0000A50B
	ds_write_b32 v11, v166 offset:6528                         // 0000000050E8: D81A1980 0000A60B
	ds_write_b32 v11, v167 offset:7584                         // 0000000050F0: D81A1DA0 0000A70B
	ds_write_b32 v11, v168 offset:8704                         // 0000000050F8: D81A2200 0000A80B
	ds_write_b32 v11, v169 offset:9760                         // 000000005100: D81A2620 0000A90B
	ds_write_b32 v11, v170 offset:10880                        // 000000005108: D81A2A80 0000AA0B
	ds_write_b32 v11, v171 offset:11936                        // 000000005110: D81A2EA0 0000AB0B
	ds_write_b32 v11, v172 offset:13056                        // 000000005118: D81A3300 0000AC0B
	ds_write_b32 v11, v173 offset:14112                        // 000000005120: D81A3720 0000AD0B
	ds_write_b32 v11, v174 offset:15232                        // 000000005128: D81A3B80 0000AE0B
	ds_write_b32 v11, v175 offset:16288                        // 000000005130: D81A3FA0 0000AF0B
	ds_write_b32 v11, v176 offset:17408                        // 000000005138: D81A4400 0000B00B
	ds_write_b32 v11, v177 offset:18464                        // 000000005140: D81A4820 0000B10B
	ds_write_b32 v11, v178 offset:19584                        // 000000005148: D81A4C80 0000B20B
	ds_write_b32 v11, v179 offset:20640                        // 000000005150: D81A50A0 0000B30B
	ds_write_b32 v11, v180 offset:21760                        // 000000005158: D81A5500 0000B40B
	ds_write_b32 v11, v181 offset:22816                        // 000000005160: D81A5920 0000B50B
	ds_write_b32 v11, v182 offset:23936                        // 000000005168: D81A5D80 0000B60B
	ds_write_b32 v11, v183 offset:24992                        // 000000005170: D81A61A0 0000B70B
	s_mov_b32 s71, s5                                          // 000000005178: BEC70005
	v_lshrrev_b32_e32 v28, 4, v0                               // 00000000517C: 20380084
	v_and_b32_e32 v29, 1, v28                                  // 000000005180: 263A3881
	v_lshlrev_b32_e32 v29, 1, v29                              // 000000005184: 243A3A81
	v_mul_i32_i24_e32 v29, s71, v29                            // 000000005188: 0C3A3A47
	v_and_b32_e32 v30, 2, v28                                  // 00000000518C: 263C3882
	v_lshlrev_b32_e32 v30, 5, v30                              // 000000005190: 243C3C85
	v_add_u32_e32 v29, v30, v29                                // 000000005194: 683A3B1E
	v_and_b32_e32 v28, 15, v0                                  // 000000005198: 2638008F
	v_lshlrev_b32_e32 v28, 2, v28                              // 00000000519C: 24383882
	v_add_u32_e32 v1, v28, v29                                 // 0000000051A0: 68023B1C
	s_mul_i32 s60, s46, s71                                    // 0000000051A4: 923C472E
	s_mul_i32 s60, s60, 4                                      // 0000000051A8: 923C843C
	v_add_u32_e32 v1, s60, v1                                  // 0000000051AC: 6802023C
	v_add_u32_e32 v2, s71, v1                                  // 0000000051B0: 68040247
	s_mov_b32 s71, s51                                         // 0000000051B4: BEC70033
	v_lshrrev_b32_e32 v28, 4, v0                               // 0000000051B8: 20380084
	v_and_b32_e32 v29, 1, v28                                  // 0000000051BC: 263A3881
	v_lshlrev_b32_e32 v29, 1, v29                              // 0000000051C0: 243A3A81
	v_mul_i32_i24_e32 v29, s71, v29                            // 0000000051C4: 0C3A3A47
	v_and_b32_e32 v30, 2, v28                                  // 0000000051C8: 263C3882
	v_lshlrev_b32_e32 v30, 5, v30                              // 0000000051CC: 243C3C85
	v_add_u32_e32 v29, v30, v29                                // 0000000051D0: 683A3B1E
	v_and_b32_e32 v28, 15, v0                                  // 0000000051D4: 2638008F
	v_lshlrev_b32_e32 v28, 2, v28                              // 0000000051D8: 24383882
	v_add_u32_e32 v212, v28, v29                               // 0000000051DC: 69A83B1C
	s_mul_i32 s60, s46, s71                                    // 0000000051E0: 923C472E
	s_mul_i32 s60, s60, 4                                      // 0000000051E4: 923C843C
	v_add_u32_e32 v212, s60, v212                              // 0000000051E8: 69A9A83C
	v_add_u32_e32 v213, s71, v212                              // 0000000051EC: 69ABA847
	v_lshrrev_b32_e32 v1, 2, v1                                // 0000000051F0: 20020282
	v_lshrrev_b32_e32 v2, 2, v2                                // 0000000051F4: 20040482
	v_lshrrev_b32_e32 v212, 2, v212                            // 0000000051F8: 21A9A882
	v_lshrrev_b32_e32 v213, 2, v213                            // 0000000051FC: 21ABAA82
	buffer_load_dword v32, v1, s[8:11], 0 idxen                // 000000005200: E0502000 80022001
	buffer_load_dword v33, v2, s[8:11], 0 idxen                // 000000005208: E0502000 80022102
	buffer_load_dword v34, v1, s[8:11], 0 idxen offset:128     // 000000005210: E0502080 80022201
	buffer_load_dword v35, v2, s[8:11], 0 idxen offset:128     // 000000005218: E0502080 80022302
	v_mov_b32_e32 v36, 0                                       // 000000005220: 7E480280
	s_mov_b64 exec, s[90:91]                                   // 000000005224: BEFE015A
	buffer_load_dword v36, v1, s[8:11], 0 idxen offset:256     // 000000005228: E0502100 80022401
	s_mov_b32 exec_lo, -1                                      // 000000005230: BEFE00C1
	s_mov_b32 exec_hi, -1                                      // 000000005234: BEFF00C1
	v_mov_b32_e32 v37, 0                                       // 000000005238: 7E4A0280
	s_mov_b64 exec, s[90:91]                                   // 00000000523C: BEFE015A
	buffer_load_dword v37, v2, s[8:11], 0 idxen offset:256     // 000000005240: E0502100 80022502
	s_mov_b32 exec_lo, -1                                      // 000000005248: BEFE00C1
	s_mov_b32 exec_hi, -1                                      // 00000000524C: BEFF00C1
	buffer_load_dword v44, v212, s[20:23], 0 idxen             // 000000005250: E0502000 80052CD4
	buffer_load_dword v45, v213, s[20:23], 0 idxen             // 000000005258: E0502000 80052DD5
	buffer_load_dword v46, v212, s[20:23], 0 idxen offset:128  // 000000005260: E0502080 80052ED4
	buffer_load_dword v47, v213, s[20:23], 0 idxen offset:128  // 000000005268: E0502080 80052FD5
	v_mov_b32_e32 v48, 0                                       // 000000005270: 7E600280
	s_mov_b64 exec, s[90:91]                                   // 000000005274: BEFE015A
	buffer_load_dword v48, v212, s[20:23], 0 idxen offset:256  // 000000005278: E0502100 800530D4
	s_mov_b32 exec_lo, -1                                      // 000000005280: BEFE00C1
	s_mov_b32 exec_hi, -1                                      // 000000005284: BEFF00C1
	v_mov_b32_e32 v49, 0                                       // 000000005288: 7E620280
	s_mov_b64 exec, s[90:91]                                   // 00000000528C: BEFE015A
	buffer_load_dword v49, v213, s[20:23], 0 idxen offset:256  // 000000005290: E0502100 800531D5
	s_mov_b32 exec_lo, -1                                      // 000000005298: BEFE00C1
	s_mov_b32 exec_hi, -1                                      // 00000000529C: BEFF00C1
	s_waitcnt lgkmcnt(0)                                       // 0000000052A0: BF8CC07F
	s_barrier                                                  // 0000000052A4: BF8A0000
	ds_read_b128 a[48:51], v22                                 // 0000000052A8: DBFE0000 30000016
	ds_read_b128 a[52:55], v22 offset:512                      // 0000000052B0: DBFE0200 34000016
	ds_read_b128 a[56:59], v22 offset:2176                     // 0000000052B8: DBFE0880 38000016
	ds_read_b128 a[60:63], v22 offset:2688                     // 0000000052C0: DBFE0A80 3C000016
	ds_read_b128 a[64:67], v22 offset:4352                     // 0000000052C8: DBFE1100 40000016
	ds_read_b128 a[68:71], v22 offset:4864                     // 0000000052D0: DBFE1300 44000016
	v_add_u32_e32 v1, s68, v1                                  // 0000000052D8: 68020244
	v_add_u32_e32 v2, s68, v2                                  // 0000000052DC: 68040444
	v_add_u32_e32 v212, s99, v212                              // 0000000052E0: 69A9A863
	v_add_u32_e32 v213, s99, v213                              // 0000000052E4: 69ABAA63
	buffer_load_dword v38, v1, s[8:11], 0 idxen                // 0000000052E8: E0502000 80022601
	buffer_load_dword v39, v2, s[8:11], 0 idxen                // 0000000052F0: E0502000 80022702
	buffer_load_dword v40, v1, s[8:11], 0 idxen offset:128     // 0000000052F8: E0502080 80022801
	buffer_load_dword v41, v2, s[8:11], 0 idxen offset:128     // 000000005300: E0502080 80022902
	v_mov_b32_e32 v42, 0                                       // 000000005308: 7E540280
	s_mov_b64 exec, s[90:91]                                   // 00000000530C: BEFE015A
	buffer_load_dword v42, v1, s[8:11], 0 idxen offset:256     // 000000005310: E0502100 80022A01
	s_mov_b32 exec_lo, -1                                      // 000000005318: BEFE00C1
	s_mov_b32 exec_hi, -1                                      // 00000000531C: BEFF00C1
	v_mov_b32_e32 v43, 0                                       // 000000005320: 7E560280
	s_mov_b64 exec, s[90:91]                                   // 000000005324: BEFE015A
	buffer_load_dword v43, v2, s[8:11], 0 idxen offset:256     // 000000005328: E0502100 80022B02
	s_mov_b32 exec_lo, -1                                      // 000000005330: BEFE00C1
	s_mov_b32 exec_hi, -1                                      // 000000005334: BEFF00C1
	buffer_load_dword v50, v212, s[20:23], 0 idxen             // 000000005338: E0502000 800532D4
	buffer_load_dword v51, v213, s[20:23], 0 idxen             // 000000005340: E0502000 800533D5
	buffer_load_dword v52, v212, s[20:23], 0 idxen offset:128  // 000000005348: E0502080 800534D4
	buffer_load_dword v53, v213, s[20:23], 0 idxen offset:128  // 000000005350: E0502080 800535D5
	v_mov_b32_e32 v54, 0                                       // 000000005358: 7E6C0280
	s_mov_b64 exec, s[90:91]                                   // 00000000535C: BEFE015A
	buffer_load_dword v54, v212, s[20:23], 0 idxen offset:256  // 000000005360: E0502100 800536D4
	s_mov_b32 exec_lo, -1                                      // 000000005368: BEFE00C1
	s_mov_b32 exec_hi, -1                                      // 00000000536C: BEFF00C1
	v_mov_b32_e32 v55, 0                                       // 000000005370: 7E6E0280
	s_mov_b64 exec, s[90:91]                                   // 000000005374: BEFE015A
	buffer_load_dword v55, v213, s[20:23], 0 idxen offset:256  // 000000005378: E0502100 800537D5
	s_mov_b32 exec_lo, -1                                      // 000000005380: BEFE00C1
	s_mov_b32 exec_hi, -1                                      // 000000005384: BEFF00C1
	v_add_u32_e32 v1, s68, v1                                  // 000000005388: 68020244
	v_add_u32_e32 v2, s68, v2                                  // 00000000538C: 68040444
	v_add_u32_e32 v212, s99, v212                              // 000000005390: 69A9A863
	v_add_u32_e32 v213, s99, v213                              // 000000005394: 69ABAA63
	s_waitcnt vmcnt(12) lgkmcnt(0)                             // 000000005398: BF8C007C
	s_barrier                                                  // 00000000539C: BF8A0000
	buffer_load_dword v9, s[24:27], 0 idxen lds                // 0000000053A0: E0512000 80060009
	s_mov_b32 m0, s81                                          // 0000000053A8: BEFC0051
	v_add_u32_e32 v9, s69, v9                                  // 0000000053AC: 68121245
	v_perm_b32 v68, v33, v32, s63                              // 0000000053B0: D1ED0044 00FE4121
	v_perm_b32 v69, v33, v32, s64                              // 0000000053B8: D1ED0045 01024121
	v_perm_b32 v70, v35, v34, s63                              // 0000000053C0: D1ED0046 00FE4523
	v_perm_b32 v71, v35, v34, s64                              // 0000000053C8: D1ED0047 01024523
	v_perm_b32 v72, v37, v36, s63                              // 0000000053D0: D1ED0048 00FE4925
	v_perm_b32 v73, v37, v36, s64                              // 0000000053D8: D1ED0049 01024925
	ds_write_b32 v13, v68 offset:6528                          // 0000000053E0: D81A1980 0000440D
	ds_write_b32 v13, v69 offset:7584                          // 0000000053E8: D81A1DA0 0000450D
	ds_write_b32 v13, v70 offset:8704                          // 0000000053F0: D81A2200 0000460D
	ds_write_b32 v13, v71 offset:9760                          // 0000000053F8: D81A2620 0000470D
	ds_write_b32 v13, v72 offset:10880                         // 000000005400: D81A2A80 0000480D
	ds_write_b32 v13, v73 offset:11936                         // 000000005408: D81A2EA0 0000490D
	ds_write_b32 v11, v32                                      // 000000005410: D81A0000 0000200B
	ds_write_b32 v11, v33 offset:1056                          // 000000005418: D81A0420 0000210B
	ds_write_b32 v11, v34 offset:2176                          // 000000005420: D81A0880 0000220B
	ds_write_b32 v11, v35 offset:3232                          // 000000005428: D81A0CA0 0000230B
	ds_write_b32 v11, v36 offset:4352                          // 000000005430: D81A1100 0000240B
	ds_write_b32 v11, v37 offset:5408                          // 000000005438: D81A1520 0000250B
	buffer_load_dword v9, s[24:27], 0 idxen lds                // 000000005440: E0512000 80060009
	s_mov_b32 m0, s80                                          // 000000005448: BEFC0050
	v_add_u32_e32 v9, s69, v9                                  // 00000000544C: 68121245
	v_perm_b32 v74, v45, v44, s63                              // 000000005450: D1ED004A 00FE592D
	v_perm_b32 v75, v45, v44, s64                              // 000000005458: D1ED004B 0102592D
	v_perm_b32 v76, v47, v46, s63                              // 000000005460: D1ED004C 00FE5D2F
	v_perm_b32 v77, v47, v46, s64                              // 000000005468: D1ED004D 01025D2F
	v_perm_b32 v78, v49, v48, s63                              // 000000005470: D1ED004E 00FE6131
	v_perm_b32 v79, v49, v48, s64                              // 000000005478: D1ED004F 01026131
	ds_write_b32 v13, v74 offset:19584                         // 000000005480: D81A4C80 00004A0D
	ds_write_b32 v13, v75 offset:20640                         // 000000005488: D81A50A0 00004B0D
	ds_write_b32 v13, v76 offset:21760                         // 000000005490: D81A5500 00004C0D
	ds_write_b32 v13, v77 offset:22816                         // 000000005498: D81A5920 00004D0D
	ds_write_b32 v13, v78 offset:23936                         // 0000000054A0: D81A5D80 00004E0D
	ds_write_b32 v13, v79 offset:24992                         // 0000000054A8: D81A61A0 00004F0D
	ds_write_b32 v11, v44 offset:13056                         // 0000000054B0: D81A3300 00002C0B
	ds_write_b32 v11, v45 offset:14112                         // 0000000054B8: D81A3720 00002D0B
	ds_write_b32 v11, v46 offset:15232                         // 0000000054C0: D81A3B80 00002E0B
	ds_write_b32 v11, v47 offset:16288                         // 0000000054C8: D81A3FA0 00002F0B
	ds_write_b32 v11, v48 offset:17408                         // 0000000054D0: D81A4400 0000300B
	ds_write_b32 v11, v49 offset:18464                         // 0000000054D8: D81A4820 0000310B
	s_waitcnt vmcnt(1) lgkmcnt(0)                              // 0000000054E0: BF8C0071
	s_barrier                                                  // 0000000054E4: BF8A0000
	ds_read_b128 a[72:75], v10                                 // 0000000054E8: DBFE0000 4800000A
	ds_read_b128 a[76:79], v10 offset:512                      // 0000000054F0: DBFE0200 4C00000A
	ds_read_b128 a[80:83], v10 offset:2176                     // 0000000054F8: DBFE0880 5000000A
	ds_read_b128 a[84:87], v10 offset:2688                     // 000000005500: DBFE0A80 5400000A
	ds_read_b128 a[88:91], v10 offset:4352                     // 000000005508: DBFE1100 5800000A
	ds_read_b128 a[92:95], v10 offset:4864                     // 000000005510: DBFE1300 5C00000A
	ds_read_b128 v[80:83], v10 offset:13056                    // 000000005518: D9FE3300 5000000A
	ds_read_b128 v[84:87], v10 offset:13568                    // 000000005520: D9FE3500 5400000A
	ds_read_b128 v[88:91], v10 offset:15232                    // 000000005528: D9FE3B80 5800000A
	ds_read_b128 v[92:95], v10 offset:15744                    // 000000005530: D9FE3D80 5C00000A
	ds_read_b128 v[96:99], v10 offset:17408                    // 000000005538: D9FE4400 6000000A
	ds_read_b128 v[100:103], v10 offset:17920                  // 000000005540: D9FE4600 6400000A
	ds_read_b32 v128, v21 offset:40704                         // 000000005548: D86C9F00 80000015
	ds_read_b32 v158, v21 offset:40960                         // 000000005550: D86CA000 9E000015
	v_accvgpr_write_b32 a96, 0                                 // 000000005558: D3D94060 18000080
	v_mov_b32_e32 v160, 0                                      // 000000005560: 7F400280
	v_accvgpr_write_b32 a97, 0                                 // 000000005564: D3D94061 18000080
	v_mov_b32_e32 v161, 0                                      // 00000000556C: 7F420280
	v_accvgpr_write_b32 a98, 0                                 // 000000005570: D3D94062 18000080
	v_mov_b32_e32 v162, 0                                      // 000000005578: 7F440280
	v_accvgpr_write_b32 a99, 0                                 // 00000000557C: D3D94063 18000080
	v_mov_b32_e32 v163, 0                                      // 000000005584: 7F460280
	v_accvgpr_write_b32 a100, 0                                // 000000005588: D3D94064 18000080
	v_mov_b32_e32 v164, 0                                      // 000000005590: 7F480280
	v_accvgpr_write_b32 a101, 0                                // 000000005594: D3D94065 18000080
	v_mov_b32_e32 v165, 0                                      // 00000000559C: 7F4A0280
	v_accvgpr_write_b32 a102, 0                                // 0000000055A0: D3D94066 18000080
	v_mov_b32_e32 v166, 0                                      // 0000000055A8: 7F4C0280
	v_accvgpr_write_b32 a103, 0                                // 0000000055AC: D3D94067 18000080
	v_mov_b32_e32 v167, 0                                      // 0000000055B4: 7F4E0280
	v_accvgpr_write_b32 a104, 0                                // 0000000055B8: D3D94068 18000080
	v_mov_b32_e32 v168, 0                                      // 0000000055C0: 7F500280
	v_accvgpr_write_b32 a105, 0                                // 0000000055C4: D3D94069 18000080
	v_mov_b32_e32 v169, 0                                      // 0000000055CC: 7F520280
	v_accvgpr_write_b32 a106, 0                                // 0000000055D0: D3D9406A 18000080
	v_mov_b32_e32 v170, 0                                      // 0000000055D8: 7F540280
	v_accvgpr_write_b32 a107, 0                                // 0000000055DC: D3D9406B 18000080
	v_mov_b32_e32 v171, 0                                      // 0000000055E4: 7F560280
	v_accvgpr_write_b32 a108, 0                                // 0000000055E8: D3D9406C 18000080
	v_mov_b32_e32 v172, 0                                      // 0000000055F0: 7F580280
	v_accvgpr_write_b32 a109, 0                                // 0000000055F4: D3D9406D 18000080
	v_mov_b32_e32 v173, 0                                      // 0000000055FC: 7F5A0280
	v_accvgpr_write_b32 a110, 0                                // 000000005600: D3D9406E 18000080
	v_mov_b32_e32 v174, 0                                      // 000000005608: 7F5C0280
	v_accvgpr_write_b32 a111, 0                                // 00000000560C: D3D9406F 18000080
	v_mov_b32_e32 v175, 0                                      // 000000005614: 7F5E0280
	v_accvgpr_write_b32 a112, 0                                // 000000005618: D3D94070 18000080
	v_mov_b32_e32 v176, 0                                      // 000000005620: 7F600280
	v_accvgpr_write_b32 a113, 0                                // 000000005624: D3D94071 18000080
	v_mov_b32_e32 v177, 0                                      // 00000000562C: 7F620280
	v_accvgpr_write_b32 a114, 0                                // 000000005630: D3D94072 18000080
	v_mov_b32_e32 v178, 0                                      // 000000005638: 7F640280
	v_accvgpr_write_b32 a115, 0                                // 00000000563C: D3D94073 18000080
	v_mov_b32_e32 v179, 0                                      // 000000005644: 7F660280
	v_accvgpr_write_b32 a116, 0                                // 000000005648: D3D94074 18000080
	v_mov_b32_e32 v180, 0                                      // 000000005650: 7F680280
	v_accvgpr_write_b32 a117, 0                                // 000000005654: D3D94075 18000080
	v_mov_b32_e32 v181, 0                                      // 00000000565C: 7F6A0280
	v_accvgpr_write_b32 a118, 0                                // 000000005660: D3D94076 18000080
	v_mov_b32_e32 v182, 0                                      // 000000005668: 7F6C0280
	v_accvgpr_write_b32 a119, 0                                // 00000000566C: D3D94077 18000080
	v_mov_b32_e32 v183, 0                                      // 000000005674: 7F6E0280
	v_accvgpr_write_b32 a120, 0                                // 000000005678: D3D94078 18000080
	v_mov_b32_e32 v184, 0                                      // 000000005680: 7F700280
	v_accvgpr_write_b32 a121, 0                                // 000000005684: D3D94079 18000080
	v_mov_b32_e32 v185, 0                                      // 00000000568C: 7F720280
	v_accvgpr_write_b32 a122, 0                                // 000000005690: D3D9407A 18000080
	v_mov_b32_e32 v186, 0                                      // 000000005698: 7F740280
	v_accvgpr_write_b32 a123, 0                                // 00000000569C: D3D9407B 18000080
	v_mov_b32_e32 v187, 0                                      // 0000000056A4: 7F760280
	v_accvgpr_write_b32 a124, 0                                // 0000000056A8: D3D9407C 18000080
	v_mov_b32_e32 v188, 0                                      // 0000000056B0: 7F780280
	v_accvgpr_write_b32 a125, 0                                // 0000000056B4: D3D9407D 18000080
	v_mov_b32_e32 v189, 0                                      // 0000000056BC: 7F7A0280
	v_accvgpr_write_b32 a126, 0                                // 0000000056C0: D3D9407E 18000080
	v_mov_b32_e32 v190, 0                                      // 0000000056C8: 7F7C0280
	v_accvgpr_write_b32 a127, 0                                // 0000000056CC: D3D9407F 18000080
	v_mov_b32_e32 v191, 0                                      // 0000000056D4: 7F7E0280
	v_accvgpr_write_b32 a128, 0                                // 0000000056D8: D3D94080 18000080
	v_mov_b32_e32 v192, 0                                      // 0000000056E0: 7F800280
	v_accvgpr_write_b32 a129, 0                                // 0000000056E4: D3D94081 18000080
	v_mov_b32_e32 v193, 0                                      // 0000000056EC: 7F820280
	v_accvgpr_write_b32 a130, 0                                // 0000000056F0: D3D94082 18000080
	v_mov_b32_e32 v194, 0                                      // 0000000056F8: 7F840280
	v_accvgpr_write_b32 a131, 0                                // 0000000056FC: D3D94083 18000080
	v_mov_b32_e32 v195, 0                                      // 000000005704: 7F860280
	v_accvgpr_write_b32 a132, 0                                // 000000005708: D3D94084 18000080
	v_mov_b32_e32 v196, 0                                      // 000000005710: 7F880280
	v_accvgpr_write_b32 a133, 0                                // 000000005714: D3D94085 18000080
	v_mov_b32_e32 v197, 0                                      // 00000000571C: 7F8A0280
	v_accvgpr_write_b32 a134, 0                                // 000000005720: D3D94086 18000080
	v_mov_b32_e32 v198, 0                                      // 000000005728: 7F8C0280
	v_accvgpr_write_b32 a135, 0                                // 00000000572C: D3D94087 18000080
	v_mov_b32_e32 v199, 0                                      // 000000005734: 7F8E0280
	v_accvgpr_write_b32 a136, 0                                // 000000005738: D3D94088 18000080
	v_mov_b32_e32 v200, 0                                      // 000000005740: 7F900280
	v_accvgpr_write_b32 a137, 0                                // 000000005744: D3D94089 18000080
	v_mov_b32_e32 v201, 0                                      // 00000000574C: 7F920280
	v_accvgpr_write_b32 a138, 0                                // 000000005750: D3D9408A 18000080
	v_mov_b32_e32 v202, 0                                      // 000000005758: 7F940280
	v_accvgpr_write_b32 a139, 0                                // 00000000575C: D3D9408B 18000080
	v_mov_b32_e32 v203, 0                                      // 000000005764: 7F960280
	v_accvgpr_write_b32 a140, 0                                // 000000005768: D3D9408C 18000080
	v_mov_b32_e32 v204, 0                                      // 000000005770: 7F980280
	v_accvgpr_write_b32 a141, 0                                // 000000005774: D3D9408D 18000080
	v_mov_b32_e32 v205, 0                                      // 00000000577C: 7F9A0280
	v_accvgpr_write_b32 a142, 0                                // 000000005780: D3D9408E 18000080
	v_mov_b32_e32 v206, 0                                      // 000000005788: 7F9C0280
	v_accvgpr_write_b32 a143, 0                                // 00000000578C: D3D9408F 18000080
	v_mov_b32_e32 v207, 0                                      // 000000005794: 7F9E0280
	v_mov_b32_e32 v144, 0                                      // 000000005798: 7F200280
	v_mov_b32_e32 v145, 0                                      // 00000000579C: 7F220280
	v_mov_b32_e32 v146, 0                                      // 0000000057A0: 7F240280
	v_mov_b32_e32 v147, 0                                      // 0000000057A4: 7F260280
	v_mov_b32_e32 v148, 0                                      // 0000000057A8: 7F280280
	v_mov_b32_e32 v149, 0                                      // 0000000057AC: 7F2A0280
	v_mov_b32_e32 v150, 0                                      // 0000000057B0: 7F2C0280
	v_mov_b32_e32 v151, 0                                      // 0000000057B4: 7F2E0280
	v_mov_b32_e32 v152, 0                                      // 0000000057B8: 7F300280
	v_mov_b32_e32 v153, 0                                      // 0000000057BC: 7F320280
	v_mov_b32_e32 v154, 0                                      // 0000000057C0: 7F340280
	v_mov_b32_e32 v155, 0                                      // 0000000057C4: 7F360280
	v_mov_b32_e32 v132, 0                                      // 0000000057C8: 7F080280
	v_mov_b32_e32 v133, 0                                      // 0000000057CC: 7F0A0280
	v_mov_b32_e32 v134, 0                                      // 0000000057D0: 7F0C0280
	v_mov_b32_e32 v135, 0                                      // 0000000057D4: 7F0E0280
	v_mov_b32_e32 v136, 0                                      // 0000000057D8: 7F100280
	v_mov_b32_e32 v137, 0                                      // 0000000057DC: 7F120280
	v_mov_b32_e32 v138, 0                                      // 0000000057E0: 7F140280
	v_mov_b32_e32 v139, 0                                      // 0000000057E4: 7F160280
	v_mov_b32_e32 v140, 0                                      // 0000000057E8: 7F180280
	v_mov_b32_e32 v141, 0                                      // 0000000057EC: 7F1A0280
	v_mov_b32_e32 v142, 0                                      // 0000000057F0: 7F1C0280
	v_mov_b32_e32 v143, 0                                      // 0000000057F4: 7F1E0280
	s_waitcnt lgkmcnt(0)                                       // 0000000057F8: BF8CC07F
	s_barrier                                                  // 0000000057FC: BF8A0000
	buffer_load_dword v32, v1, s[8:11], 0 idxen                // 000000005800: E0502000 80022001
	buffer_load_dword v33, v2, s[8:11], 0 idxen                // 000000005808: E0502000 80022102
	buffer_load_dword v34, v1, s[8:11], 0 idxen offset:128     // 000000005810: E0502080 80022201
	buffer_load_dword v35, v2, s[8:11], 0 idxen offset:128     // 000000005818: E0502080 80022302
	v_mov_b32_e32 v36, 0                                       // 000000005820: 7E480280
	s_mov_b64 exec, s[90:91]                                   // 000000005824: BEFE015A
	buffer_load_dword v36, v1, s[8:11], 0 idxen offset:256     // 000000005828: E0502100 80022401
	s_mov_b32 exec_lo, -1                                      // 000000005830: BEFE00C1
	s_mov_b32 exec_hi, -1                                      // 000000005834: BEFF00C1
	v_mov_b32_e32 v37, 0                                       // 000000005838: 7E4A0280
	s_mov_b64 exec, s[90:91]                                   // 00000000583C: BEFE015A
	buffer_load_dword v37, v2, s[8:11], 0 idxen offset:256     // 000000005840: E0502100 80022502
	s_mov_b32 exec_lo, -1                                      // 000000005848: BEFE00C1
	s_mov_b32 exec_hi, -1                                      // 00000000584C: BEFF00C1
	buffer_load_dword v44, v212, s[20:23], 0 idxen             // 000000005850: E0502000 80052CD4
	buffer_load_dword v45, v213, s[20:23], 0 idxen             // 000000005858: E0502000 80052DD5
	buffer_load_dword v46, v212, s[20:23], 0 idxen offset:128  // 000000005860: E0502080 80052ED4
	buffer_load_dword v47, v213, s[20:23], 0 idxen offset:128  // 000000005868: E0502080 80052FD5
	v_mov_b32_e32 v48, 0                                       // 000000005870: 7E600280
	s_mov_b64 exec, s[90:91]                                   // 000000005874: BEFE015A
	buffer_load_dword v48, v212, s[20:23], 0 idxen offset:256  // 000000005878: E0502100 800530D4
	s_mov_b32 exec_lo, -1                                      // 000000005880: BEFE00C1
	s_mov_b32 exec_hi, -1                                      // 000000005884: BEFF00C1
	v_mov_b32_e32 v49, 0                                       // 000000005888: 7E620280
	s_mov_b64 exec, s[90:91]                                   // 00000000588C: BEFE015A
	buffer_load_dword v49, v213, s[20:23], 0 idxen offset:256  // 000000005890: E0502100 800531D5
	s_mov_b32 exec_lo, -1                                      // 000000005898: BEFE00C1
	s_mov_b32 exec_hi, -1                                      // 00000000589C: BEFF00C1
	buffer_load_dword v9, s[24:27], 0 idxen lds                // 0000000058A0: E0512000 80060009
	s_mov_b32 m0, s81                                          // 0000000058A8: BEFC0051
	v_add_u32_e32 v9, s69, v9                                  // 0000000058AC: 68121245
	v_add_u32_e32 v1, s68, v1                                  // 0000000058B0: 68020244
	v_add_u32_e32 v2, s68, v2                                  // 0000000058B4: 68040444
	v_add_u32_e32 v212, s99, v212                              // 0000000058B8: 69A9A863
	v_add_u32_e32 v213, s99, v213                              // 0000000058BC: 69ABAA63
	v_mul_f32_e32 v128, s48, v128                              // 0000000058C0: 0B010030
	v_perm_b32 v68, v39, v38, s63                              // 0000000058C4: D1ED0044 00FE4D27
	v_perm_b32 v69, v39, v38, s64                              // 0000000058CC: D1ED0045 01024D27
	v_perm_b32 v70, v41, v40, s63                              // 0000000058D4: D1ED0046 00FE5129
	v_perm_b32 v71, v41, v40, s64                              // 0000000058DC: D1ED0047 01025129
	v_perm_b32 v72, v43, v42, s63                              // 0000000058E4: D1ED0048 00FE552B
	v_perm_b32 v73, v43, v42, s64                              // 0000000058EC: D1ED0049 0102552B
	v_perm_b32 v74, v51, v50, s63                              // 0000000058F4: D1ED004A 00FE6533
	v_perm_b32 v75, v51, v50, s64                              // 0000000058FC: D1ED004B 01026533
	v_perm_b32 v76, v53, v52, s63                              // 000000005904: D1ED004C 00FE6935
	v_perm_b32 v77, v53, v52, s64                              // 00000000590C: D1ED004D 01026935
	v_perm_b32 v78, v55, v54, s63                              // 000000005914: D1ED004E 00FE6D37
	v_perm_b32 v79, v55, v54, s64                              // 00000000591C: D1ED004F 01026D37
	v_mov_b32_dpp v131, v128 quad_perm:[3,3,3,3] row_mask:0xf bank_mask:0xf// 000000005924: 7F0602FA FF00FF80
	v_mov_b32_dpp v130, v128 quad_perm:[2,2,2,2] row_mask:0xf bank_mask:0xf// 00000000592C: 7F0402FA FF00AA80
	v_mov_b32_dpp v129, v128 quad_perm:[1,1,1,1] row_mask:0xf bank_mask:0xf// 000000005934: 7F0202FA FF005580
	v_mov_b32_dpp v128, v128 quad_perm:[0,0,0,0] row_mask:0xf bank_mask:0xf// 00000000593C: 7F0002FA FF000080
	s_waitcnt vmcnt(13)                                        // 000000005944: BF8C0F7D
	s_barrier                                                  // 000000005948: BF8A0000
	s_cmp_lt_i32 s46, 2                                        // 00000000594C: BF04822E
	s_cbranch_scc0 label_0A27                                  // 000000005950: BF8403D2
	s_nop 0                                                    // 000000005954: BF800000
	s_nop 0                                                    // 000000005958: BF800000

000000000000595c <label_0657>:
	s_waitcnt lgkmcnt(0)                                       // 00000000595C: BF8CC07F
	s_barrier                                                  // 000000005960: BF8A0000
	v_mfma_f32_16x16x16_bf16 v[56:59], a[72:73], a[0:1], 0     // 000000005964: D3E10038 1A020148
	ds_write_b32 v11, v50 offset:13056                         // 00000000596C: D81A3300 0000320B
	ds_write_b32 v11, v51 offset:14112                         // 000000005974: D81A3720 0000330B
	ds_write_b32 v11, v52 offset:15232                         // 00000000597C: D81A3B80 0000340B
	v_mfma_f32_16x16x16_bf16 v[56:59], a[74:75], a[2:3], v[56:59]// 000000005984: D3E10038 1CE2054A
	v_mul_f32_e32 v132, s47, v132                              // 00000000598C: 0B09082F
	v_mul_f32_e32 v133, s47, v133                              // 000000005990: 0B0B0A2F
	v_mul_f32_e32 v134, s47, v134                              // 000000005994: 0B0D0C2F
	v_mul_f32_e32 v135, s47, v135                              // 000000005998: 0B0F0E2F
	v_mfma_f32_16x16x16_bf16 v[56:59], a[76:77], a[4:5], v[56:59]// 00000000599C: D3E10038 1CE2094C
	ds_write_b32 v11, v53 offset:16288                         // 0000000059A4: D81A3FA0 0000350B
	ds_write_b32 v11, v54 offset:17408                         // 0000000059AC: D81A4400 0000360B
	ds_write_b32 v11, v55 offset:18464                         // 0000000059B4: D81A4820 0000370B
	v_mfma_f32_16x16x16_bf16 v[56:59], a[78:79], a[6:7], v[56:59]// 0000000059BC: D3E10038 1CE20D4E
	v_mul_f32_e32 v136, s47, v136                              // 0000000059C4: 0B11102F
	v_mul_f32_e32 v137, s47, v137                              // 0000000059C8: 0B13122F
	v_mul_f32_e32 v138, s47, v138                              // 0000000059CC: 0B15142F
	v_mul_f32_e32 v139, s47, v139                              // 0000000059D0: 0B17162F
	v_mfma_f32_16x16x16_bf16 v[56:59], a[80:81], a[8:9], v[56:59]// 0000000059D4: D3E10038 1CE21150
	ds_write_b64 v20, v[132:133] offset:28416                  // 0000000059DC: D89A6F00 00008414
	ds_write_b64 v20, v[134:135] offset:28928                  // 0000000059E4: D89A7100 00008614
	v_mfma_f32_16x16x16_bf16 v[56:59], a[82:83], a[10:11], v[56:59]// 0000000059EC: D3E10038 1CE21552
	v_mul_f32_e32 v140, s47, v140                              // 0000000059F4: 0B19182F
	v_mul_f32_e32 v141, s47, v141                              // 0000000059F8: 0B1B1A2F
	v_mul_f32_e32 v142, s47, v142                              // 0000000059FC: 0B1D1C2F
	v_mul_f32_e32 v143, s47, v143                              // 000000005A00: 0B1F1E2F
	v_mfma_f32_16x16x16_bf16 v[56:59], a[84:85], a[12:13], v[56:59]// 000000005A04: D3E10038 1CE21954
	ds_write_b64 v20, v[136:137] offset:29440                  // 000000005A0C: D89A7300 00008814
	ds_write_b64 v20, v[138:139] offset:29952                  // 000000005A14: D89A7500 00008A14
	v_mfma_f32_16x16x16_bf16 v[56:59], a[86:87], a[14:15], v[56:59]// 000000005A1C: D3E10038 1CE21D56
	ds_write_b64 v20, v[140:141] offset:30464                  // 000000005A24: D89A7700 00008C14
	ds_write_b64 v20, v[142:143] offset:30976                  // 000000005A2C: D89A7900 00008E14
	v_mfma_f32_16x16x16_bf16 v[56:59], a[88:89], a[16:17], v[56:59]// 000000005A34: D3E10038 1CE22158
	ds_read_b128 v[104:107], v12 offset:19584                  // 000000005A3C: D9FE4C80 6800000C
	v_mfma_f32_16x16x16_bf16 v[56:59], a[90:91], a[18:19], v[56:59]// 000000005A44: D3E10038 1CE2255A
	ds_read_b128 v[108:111], v12 offset:20096                  // 000000005A4C: D9FE4E80 6C00000C
	v_mfma_f32_16x16x16_bf16 v[56:59], a[92:93], a[20:21], v[56:59]// 000000005A54: D3E10038 1CE2295C
	ds_read_b128 v[112:115], v12 offset:21760                  // 000000005A5C: D9FE5500 7000000C
	ds_read_b128 v[116:119], v12 offset:22272                  // 000000005A64: D9FE5700 7400000C
	v_mfma_f32_16x16x16_bf16 v[56:59], a[94:95], a[22:23], v[56:59]// 000000005A6C: D3E10038 1CE22D5E
	ds_read_b128 v[120:123], v12 offset:23936                  // 000000005A74: D9FE5D80 7800000C
	ds_read_b128 v[124:127], v12 offset:24448                  // 000000005A7C: D9FE5F80 7C00000C
	s_cmp_eq_i32 s44, 0                                        // 000000005A84: BF00802C
	s_cbranch_scc1 label_06C9                                  // 000000005A88: BF850026
	s_cmp_lt_i32 s74, 4                                        // 000000005A8C: BF04844A
	s_cbranch_scc0 label_06B8                                  // 000000005A90: BF840013
	s_lshl_b32 s60, s74, 4                                     // 000000005A94: 8E3C844A
	v_sub_i32 v28, v214, s60                                   // 000000005A98: D29D001C 000079D6
	v_cmp_gt_i32_e64 s[60:61], v28, 0                          // 000000005AA0: D0C4003C 0001011C
	v_cmp_gt_i32_e64 s[70:71], v28, 1                          // 000000005AA8: D0C40046 0001031C
	v_cndmask_b32_e64 v56, v56, v159, s[60:61]                 // 000000005AB0: D1000038 00F33F38
	v_cndmask_b32_e64 v57, v57, v159, s[70:71]                 // 000000005AB8: D1000039 011B3F39
	v_cmp_gt_i32_e64 s[60:61], v28, 2                          // 000000005AC0: D0C4003C 0001051C
	v_cmp_gt_i32_e64 s[70:71], v28, 3                          // 000000005AC8: D0C40046 0001071C
	v_cndmask_b32_e64 v58, v58, v159, s[60:61]                 // 000000005AD0: D100003A 00F33F3A
	v_cndmask_b32_e64 v59, v59, v159, s[70:71]                 // 000000005AD8: D100003B 011B3F3B

0000000000005ae0 <label_06B8>:
	s_cmp_lt_i32 s100, 64                                      // 000000005AE0: BF04C064
	s_cbranch_scc0 label_06C9                                  // 000000005AE4: BF84000F
	v_and_b32_e32 v28, 15, v0                                  // 000000005AE8: 2638008F
	v_mul_i32_i24_e64 v29, s46, 16                             // 000000005AEC: D106001D 0001202E
	v_add_u32_e32 v28, v28, v29                                // 000000005AF4: 68383B1C
	v_cmp_lt_u32_e64 s[60:61], v28, s100                       // 000000005AF8: D0C9003C 0000C91C
	s_nop 1                                                    // 000000005B00: BF800001
	v_cndmask_b32_e64 v56, v159, v56, s[60:61]                 // 000000005B04: D1000038 00F2719F
	v_cndmask_b32_e64 v57, v159, v57, s[60:61]                 // 000000005B0C: D1000039 00F2739F
	v_cndmask_b32_e64 v58, v159, v58, s[60:61]                 // 000000005B14: D100003A 00F2759F
	v_cndmask_b32_e64 v59, v159, v59, s[60:61]                 // 000000005B1C: D100003B 00F2779F

0000000000005b24 <label_06C9>:
	s_addk_i32 s74, 0x1                                        // 000000005B24: B74A0001
	s_waitcnt lgkmcnt(6)                                       // 000000005B28: BF8CC67F
	s_barrier                                                  // 000000005B2C: BF8A0000
	v_mfma_f32_16x16x16_bf16 v[64:67], v[80:81], a[48:49], 0   // 000000005B30: D3E10040 12026150
	ds_read_b128 a[72:75], v12 offset:6528                     // 000000005B38: DBFE1980 4800000C
	ds_read_b128 a[76:79], v12 offset:7040                     // 000000005B40: DBFE1B80 4C00000C
	ds_write_b32 v11, v38                                      // 000000005B48: D81A0000 0000260B
	ds_write_b32 v11, v39 offset:1056                          // 000000005B50: D81A0420 0000270B
	v_mfma_f32_16x16x16_bf16 v[64:67], v[82:83], a[50:51], v[64:67]// 000000005B58: D3E10040 15026552
	v_fma_f32 v56, v56, s57, -v128                             // 000000005B60: D1CB0038 86007338
	v_fma_f32 v57, v57, s57, -v129                             // 000000005B68: D1CB0039 86047339
	v_fma_f32 v58, v58, s57, -v130                             // 000000005B70: D1CB003A 8608733A
	v_fma_f32 v59, v59, s57, -v131                             // 000000005B78: D1CB003B 860C733B
	v_mfma_f32_16x16x16_bf16 v[64:67], v[84:85], a[52:53], v[64:67]// 000000005B80: D3E10040 15026954
	ds_read_b128 a[80:83], v12 offset:8704                     // 000000005B88: DBFE2200 5000000C
	ds_read_b128 a[84:87], v12 offset:9216                     // 000000005B90: DBFE2400 5400000C
	ds_write_b32 v11, v40 offset:2176                          // 000000005B98: D81A0880 0000280B
	v_mfma_f32_16x16x16_bf16 v[64:67], v[86:87], a[54:55], v[64:67]// 000000005BA0: D3E10040 15026D56
	v_exp_f32_e32 v56, v56                                     // 000000005BA8: 7E704138
	v_mfma_f32_16x16x16_bf16 v[64:67], v[88:89], a[56:57], v[64:67]// 000000005BAC: D3E10040 15027158
	ds_read_b128 a[88:91], v12 offset:10880                    // 000000005BB4: DBFE2A80 5800000C
	ds_read_b128 a[92:95], v12 offset:11392                    // 000000005BBC: DBFE2C80 5C00000C
	ds_write_b32 v11, v41 offset:3232                          // 000000005BC4: D81A0CA0 0000290B
	v_mfma_f32_16x16x16_bf16 v[64:67], v[90:91], a[58:59], v[64:67]// 000000005BCC: D3E10040 1502755A
	v_exp_f32_e32 v57, v57                                     // 000000005BD4: 7E724139
	v_mfma_f32_16x16x16_bf16 v[64:67], v[92:93], a[60:61], v[64:67]// 000000005BD8: D3E10040 1502795C
	ds_read_b64 v[144:145], v19 offset:28416                   // 000000005BE0: D8EC6F00 90000013
	ds_read_b64 v[146:147], v19 offset:30464                   // 000000005BE8: D8EC7700 92000013
	ds_read_b64 v[148:149], v19 offset:32512                   // 000000005BF0: D8EC7F00 94000013
	ds_write_b32 v11, v42 offset:4352                          // 000000005BF8: D81A1100 00002A0B
	v_mfma_f32_16x16x16_bf16 v[64:67], v[94:95], a[62:63], v[64:67]// 000000005C00: D3E10040 15027D5E
	v_exp_f32_e32 v58, v58                                     // 000000005C08: 7E74413A
	v_mfma_f32_16x16x16_bf16 v[64:67], v[96:97], a[64:65], v[64:67]// 000000005C0C: D3E10040 15028160
	ds_read_b64 v[150:151], v19 offset:34560                   // 000000005C14: D8EC8700 96000013
	ds_read_b64 v[152:153], v19 offset:36608                   // 000000005C1C: D8EC8F00 98000013
	ds_read_b64 v[154:155], v19 offset:38656                   // 000000005C24: D8EC9700 9A000013
	ds_write_b32 v11, v43 offset:5408                          // 000000005C2C: D81A1520 00002B0B
	v_mfma_f32_16x16x16_bf16 v[64:67], v[98:99], a[66:67], v[64:67]// 000000005C34: D3E10040 15028562
	v_exp_f32_e32 v59, v59                                     // 000000005C3C: 7E76413B
	v_mfma_f32_16x16x16_bf16 v[64:67], v[100:101], a[68:69], v[64:67]// 000000005C40: D3E10040 15028964
	v_perm_b32 v156, v57, v56, s64                             // 000000005C48: D1ED009C 01027139
	v_mfma_f32_16x16x16_bf16 v[64:67], v[102:103], a[70:71], v[64:67]// 000000005C50: D3E10040 15028D66
	v_perm_b32 v157, v59, v58, s64                             // 000000005C58: D1ED009D 0102753B
	v_add_u32_e32 v7, s66, v7                                  // 000000005C60: 680E0E42
	v_add_u32_e32 v8, s66, v8                                  // 000000005C64: 68101042
	s_waitcnt lgkmcnt(0)                                       // 000000005C68: BF8CC07F
	s_barrier                                                  // 000000005C6C: BF8A0000
	v_mfma_f32_16x16x16_bf16 v[160:163], v[104:105], v[156:157], v[160:163]// 000000005C70: D3E100A0 06833968
	v_subrev_f32_dpp v64, v158, v64 quad_perm:[0,0,0,0] row_mask:0xf bank_mask:0xf// 000000005C78: 068080FA FF00009E
	v_subrev_f32_dpp v65, v158, v65 quad_perm:[1,1,1,1] row_mask:0xf bank_mask:0xf// 000000005C80: 068282FA FF00559E
	buffer_atomic_add_f32 v144, v7, s[32:35], 0 offen          // 000000005C88: E1341000 80089007
	v_mfma_f32_16x16x16_bf16 v[164:167], v[106:107], v[156:157], v[164:167]// 000000005C90: D3E100A4 0693396A
	v_subrev_f32_dpp v66, v158, v66 quad_perm:[2,2,2,2] row_mask:0xf bank_mask:0xf// 000000005C98: 068484FA FF00AA9E
	v_subrev_f32_dpp v67, v158, v67 quad_perm:[3,3,3,3] row_mask:0xf bank_mask:0xf// 000000005CA0: 068686FA FF00FF9E
	buffer_atomic_add_f32 v145, v8, s[32:35], 0 offen          // 000000005CA8: E1341000 80089108
	v_mfma_f32_16x16x16_bf16 v[168:171], v[108:109], v[156:157], v[168:171]// 000000005CB0: D3E100A8 06A3396C
	v_mul_f32_e32 v64, v56, v64                                // 000000005CB8: 0A808138
	v_mul_f32_e32 v65, v57, v65                                // 000000005CBC: 0A828339
	buffer_atomic_add_f32 v146, v7, s[32:35], 0 offen offset:128// 000000005CC0: E1341080 80089207
	v_mfma_f32_16x16x16_bf16 v[172:175], v[110:111], v[156:157], v[172:175]// 000000005CC8: D3E100AC 06B3396E
	v_mul_f32_e32 v66, v58, v66                                // 000000005CD0: 0A84853A
	v_mul_f32_e32 v67, v59, v67                                // 000000005CD4: 0A86873B
	buffer_atomic_add_f32 v147, v8, s[32:35], 0 offen offset:128// 000000005CD8: E1341080 80089308
	v_mfma_f32_16x16x16_bf16 v[176:179], v[112:113], v[156:157], v[176:179]// 000000005CE0: D3E100B0 06C33970
	v_perm_b32 v64, v65, v64, s64                              // 000000005CE8: D1ED0040 01028141
	v_mfma_f32_16x16x16_bf16 v[180:183], v[114:115], v[156:157], v[180:183]// 000000005CF0: D3E100B4 06D33972
	v_perm_b32 v65, v67, v66, s64                              // 000000005CF8: D1ED0041 01028543
	v_mfma_f32_16x16x16_bf16 v[184:187], v[116:117], v[156:157], v[184:187]// 000000005D00: D3E100B8 06E33974
	v_mov_b32_dpp v16, v64 quad_perm:[1,0,3,2] row_mask:0xf bank_mask:0xf// 000000005D08: 7E2002FA FF00B140
	v_perm_b32 v56, v16, v64, v15                              // 000000005D10: D1ED0038 043E8110
	buffer_atomic_add_f32 v148, v7, s[32:35], 0 offen offset:256// 000000005D18: E1341100 80089407
	v_mfma_f32_16x16x16_bf16 v[188:191], v[118:119], v[156:157], v[188:191]// 000000005D20: D3E100BC 06F33976
	v_mov_b32_dpp v16, v65 quad_perm:[1,0,3,2] row_mask:0xf bank_mask:0xf// 000000005D28: 7E2002FA FF00B141
	v_perm_b32 v57, v16, v65, v15                              // 000000005D30: D1ED0039 043E8310
	buffer_atomic_add_f32 v149, v8, s[32:35], 0 offen offset:256// 000000005D38: E1341100 80089508
	v_mfma_f32_16x16x16_bf16 v[192:195], v[120:121], v[156:157], v[192:195]// 000000005D40: D3E100C0 07033978
	ds_write_b32 v13, v68 offset:6528                          // 000000005D48: D81A1980 0000440D
	ds_write_b32 v13, v69 offset:7584                          // 000000005D50: D81A1DA0 0000450D
	v_mfma_f32_16x16x16_bf16 v[196:199], v[122:123], v[156:157], v[196:199]// 000000005D58: D3E100C4 0713397A
	ds_write_b32 v18, v56 offset:26112                         // 000000005D60: D81A6600 00003812
	ds_write_b32 v18, v57 offset:26656                         // 000000005D68: D81A6820 00003912
	v_mfma_f32_16x16x16_bf16 v[200:203], v[124:125], v[156:157], v[200:203]// 000000005D70: D3E100C8 0723397C
	ds_write_b32 v13, v70 offset:8704                          // 000000005D78: D81A2200 0000460D
	ds_write_b32 v13, v71 offset:9760                          // 000000005D80: D81A2620 0000470D
	v_mfma_f32_16x16x16_bf16 v[204:207], v[126:127], v[156:157], v[204:207]// 000000005D88: D3E100CC 0733397E
	ds_write_b32 v13, v72 offset:10880                         // 000000005D90: D81A2A80 0000480D
	ds_write_b32 v13, v73 offset:11936                         // 000000005D98: D81A2EA0 0000490D
	s_barrier                                                  // 000000005DA0: BF8A0000
	v_mfma_f32_16x16x16_bf16 a[96:99], a[72:73], v[64:65], a[96:99]// 000000005DA4: D3E18060 0D828148
	buffer_atomic_add_f32 v150, v7, s[32:35], 0 offen offset:384// 000000005DAC: E1341180 80089607
	buffer_atomic_add_f32 v151, v8, s[32:35], 0 offen offset:384// 000000005DB4: E1341180 80089708
	v_mfma_f32_16x16x16_bf16 a[100:103], a[74:75], v[64:65], a[100:103]// 000000005DBC: D3E18064 0D92814A
	ds_read_b32 v128, v21 offset:41216                         // 000000005DC4: D86CA100 80000015
	ds_read_b32 v158, v21 offset:41472                         // 000000005DCC: D86CA200 9E000015
	v_mfma_f32_16x16x16_bf16 a[104:107], a[76:77], v[64:65], a[104:107]// 000000005DD4: D3E18068 0DA2814C
	s_waitcnt lgkmcnt(6)                                       // 000000005DDC: BF8CC67F
	s_barrier                                                  // 000000005DE0: BF8A0000
	v_mfma_f32_16x16x16_bf16 a[108:111], a[78:79], v[64:65], a[108:111]// 000000005DE4: D3E1806C 0DB2814E
	ds_read_b128 v[56:59], v17 offset:26112                    // 000000005DEC: D9FE6600 38000011
	v_mfma_f32_16x16x16_bf16 a[112:115], a[80:81], v[64:65], a[112:115]// 000000005DF4: D3E18070 0DC28150
	s_mov_b64 exec, s[94:95]                                   // 000000005DFC: BEFE015E
	buffer_atomic_add_f32 v152, v7, s[32:35], 0 offen offset:512// 000000005E00: E1341200 80089807
	s_mov_b32 exec_lo, -1                                      // 000000005E08: BEFE00C1
	s_mov_b32 exec_hi, -1                                      // 000000005E0C: BEFF00C1
	v_mfma_f32_16x16x16_bf16 a[116:119], a[82:83], v[64:65], a[116:119]// 000000005E10: D3E18074 0DD28152
	ds_read_b128 v[60:63], v17 offset:27264                    // 000000005E18: D9FE6A80 3C000011
	v_mfma_f32_16x16x16_bf16 a[120:123], a[84:85], v[64:65], a[120:123]// 000000005E20: D3E18078 0DE28154
	s_mov_b64 exec, s[94:95]                                   // 000000005E28: BEFE015E
	buffer_atomic_add_f32 v153, v8, s[32:35], 0 offen offset:512// 000000005E2C: E1341200 80089908
	s_mov_b32 exec_lo, -1                                      // 000000005E34: BEFE00C1
	s_mov_b32 exec_hi, -1                                      // 000000005E38: BEFF00C1
	v_mfma_f32_16x16x16_bf16 a[124:127], a[86:87], v[64:65], a[124:127]// 000000005E3C: D3E1807C 0DF28156
	ds_write_b32 v13, v74 offset:19584                         // 000000005E44: D81A4C80 00004A0D
	ds_write_b32 v13, v75 offset:20640                         // 000000005E4C: D81A50A0 00004B0D
	v_mfma_f32_16x16x16_bf16 a[128:131], a[88:89], v[64:65], a[128:131]// 000000005E54: D3E18080 0E028158
	s_mov_b64 exec, s[96:97]                                   // 000000005E5C: BEFE0160
	buffer_atomic_add_f32 v154, v7, s[32:35], 0 offen offset:640// 000000005E60: E1341280 80089A07
	s_mov_b32 exec_lo, -1                                      // 000000005E68: BEFE00C1
	s_mov_b32 exec_hi, -1                                      // 000000005E6C: BEFF00C1
	v_mfma_f32_16x16x16_bf16 a[132:135], a[90:91], v[64:65], a[132:135]// 000000005E70: D3E18084 0E12815A
	ds_write_b32 v13, v76 offset:21760                         // 000000005E78: D81A5500 00004C0D
	ds_write_b32 v13, v77 offset:22816                         // 000000005E80: D81A5920 00004D0D
	v_mfma_f32_16x16x16_bf16 a[136:139], a[92:93], v[64:65], a[136:139]// 000000005E88: D3E18088 0E22815C
	s_mov_b64 exec, s[96:97]                                   // 000000005E90: BEFE0160
	buffer_atomic_add_f32 v155, v8, s[32:35], 0 offen offset:640// 000000005E94: E1341280 80089B08
	s_mov_b32 exec_lo, -1                                      // 000000005E9C: BEFE00C1
	s_mov_b32 exec_hi, -1                                      // 000000005EA0: BEFF00C1
	v_mfma_f32_16x16x16_bf16 a[140:143], a[94:95], v[64:65], a[140:143]// 000000005EA4: D3E1808C 0E32815E
	ds_write_b32 v13, v78 offset:23936                         // 000000005EAC: D81A5D80 00004E0D
	ds_write_b32 v13, v79 offset:24992                         // 000000005EB4: D81A61A0 00004F0D
	s_waitcnt vmcnt(12) lgkmcnt(6)                             // 000000005EBC: BF8C067C
	s_barrier                                                  // 000000005EC0: BF8A0000
	v_mfma_f32_16x16x16_bf16 v[132:135], v[56:57], a[24:25], 0 // 000000005EC4: D3E10084 12023138
	v_mul_f32_e32 v128, s48, v128                              // 000000005ECC: 0B010030
	v_perm_b32 v68, v33, v32, s63                              // 000000005ED0: D1ED0044 00FE4121
	v_perm_b32 v69, v33, v32, s64                              // 000000005ED8: D1ED0045 01024121
	v_perm_b32 v70, v35, v34, s63                              // 000000005EE0: D1ED0046 00FE4523
	v_mfma_f32_16x16x16_bf16 v[132:135], v[58:59], a[30:31], v[132:135]// 000000005EE8: D3E10084 16123D3A
	ds_read_b128 a[72:75], v10                                 // 000000005EF0: DBFE0000 4800000A
	ds_read_b128 a[76:79], v10 offset:512                      // 000000005EF8: DBFE0200 4C00000A
	ds_read_b128 a[80:83], v10 offset:2176                     // 000000005F00: DBFE0880 5000000A
	buffer_load_dword v38, v1, s[8:11], 0 idxen                // 000000005F08: E0502000 80022601
	buffer_load_dword v39, v2, s[8:11], 0 idxen                // 000000005F10: E0502000 80022702
	v_mfma_f32_16x16x16_bf16 v[132:135], v[60:61], a[36:37], v[132:135]// 000000005F18: D3E10084 1612493C
	v_perm_b32 v71, v35, v34, s64                              // 000000005F20: D1ED0047 01024523
	v_perm_b32 v72, v37, v36, s63                              // 000000005F28: D1ED0048 00FE4925
	v_perm_b32 v73, v37, v36, s64                              // 000000005F30: D1ED0049 01024925
	v_mfma_f32_16x16x16_bf16 v[132:135], v[62:63], a[42:43], v[132:135]// 000000005F38: D3E10084 1612553E
	ds_read_b128 a[84:87], v10 offset:2688                     // 000000005F40: DBFE0A80 5400000A
	ds_read_b128 a[88:91], v10 offset:4352                     // 000000005F48: DBFE1100 5800000A
	ds_read_b128 a[92:95], v10 offset:4864                     // 000000005F50: DBFE1300 5C00000A
	buffer_load_dword v40, v1, s[8:11], 0 idxen offset:128     // 000000005F58: E0502080 80022801
	buffer_load_dword v41, v2, s[8:11], 0 idxen offset:128     // 000000005F60: E0502080 80022902
	v_mfma_f32_16x16x16_bf16 v[136:139], v[56:57], a[26:27], 0 // 000000005F68: D3E10088 12023538
	v_perm_b32 v74, v45, v44, s63                              // 000000005F70: D1ED004A 00FE592D
	v_perm_b32 v75, v45, v44, s64                              // 000000005F78: D1ED004B 0102592D
	v_perm_b32 v76, v47, v46, s63                              // 000000005F80: D1ED004C 00FE5D2F
	v_mov_b32_dpp v131, v128 quad_perm:[3,3,3,3] row_mask:0xf bank_mask:0xf// 000000005F88: 7F0602FA FF00FF80
	v_mov_b32_dpp v130, v128 quad_perm:[2,2,2,2] row_mask:0xf bank_mask:0xf// 000000005F90: 7F0402FA FF00AA80
	v_mfma_f32_16x16x16_bf16 v[136:139], v[58:59], a[32:33], v[136:139]// 000000005F98: D3E10088 1622413A
	ds_read_b128 v[80:83], v10 offset:13056                    // 000000005FA0: D9FE3300 5000000A
	ds_read_b128 v[84:87], v10 offset:13568                    // 000000005FA8: D9FE3500 5400000A
	ds_read_b128 v[88:91], v10 offset:15232                    // 000000005FB0: D9FE3B80 5800000A
	buffer_load_dword v50, v212, s[20:23], 0 idxen             // 000000005FB8: E0502000 800532D4
	buffer_load_dword v51, v213, s[20:23], 0 idxen             // 000000005FC0: E0502000 800533D5
	v_mfma_f32_16x16x16_bf16 v[136:139], v[60:61], a[38:39], v[136:139]// 000000005FC8: D3E10088 16224D3C
	v_perm_b32 v77, v47, v46, s64                              // 000000005FD0: D1ED004D 01025D2F
	v_perm_b32 v78, v49, v48, s63                              // 000000005FD8: D1ED004E 00FE6131
	v_perm_b32 v79, v49, v48, s64                              // 000000005FE0: D1ED004F 01026131
	v_mov_b32_dpp v129, v128 quad_perm:[1,1,1,1] row_mask:0xf bank_mask:0xf// 000000005FE8: 7F0202FA FF005580
	v_mov_b32_dpp v128, v128 quad_perm:[0,0,0,0] row_mask:0xf bank_mask:0xf// 000000005FF0: 7F0002FA FF000080
	v_mfma_f32_16x16x16_bf16 v[136:139], v[62:63], a[44:45], v[136:139]// 000000005FF8: D3E10088 1622593E
	ds_read_b128 v[92:95], v10 offset:15744                    // 000000006000: D9FE3D80 5C00000A
	ds_read_b128 v[96:99], v10 offset:17408                    // 000000006008: D9FE4400 6000000A
	ds_read_b128 v[100:103], v10 offset:17920                  // 000000006010: D9FE4600 6400000A
	buffer_load_dword v52, v212, s[20:23], 0 idxen offset:128  // 000000006018: E0502080 800534D4
	buffer_load_dword v53, v213, s[20:23], 0 idxen offset:128  // 000000006020: E0502080 800535D5
	v_mfma_f32_16x16x16_bf16 v[140:143], v[56:57], a[28:29], 0 // 000000006028: D3E1008C 12023938
	s_add_u32 s60, 64, s59                                     // 000000006030: 803C3BC0
	s_cmp_lt_u32 s60, s58                                      // 000000006034: BF0A3A3C
	s_cselect_b32 s68, s68, 0                                  // 000000006038: 85448044
	s_cselect_b32 s99, s99, 0                                  // 00000000603C: 85638063
	s_cselect_b32 s69, s69, 0                                  // 000000006040: 85458045
	v_mfma_f32_16x16x16_bf16 v[140:143], v[58:59], a[34:35], v[140:143]// 000000006044: D3E1008C 1632453A
	buffer_load_dword v9, s[24:27], 0 idxen lds                // 00000000604C: E0512000 80060009
	v_mov_b32_e32 v42, 0                                       // 000000006054: 7E540280
	s_mov_b64 exec, s[90:91]                                   // 000000006058: BEFE015A
	buffer_load_dword v42, v1, s[8:11], 0 idxen offset:256     // 00000000605C: E0502100 80022A01
	s_mov_b32 exec_lo, -1                                      // 000000006064: BEFE00C1
	s_mov_b32 exec_hi, -1                                      // 000000006068: BEFF00C1
	v_mov_b32_e32 v43, 0                                       // 00000000606C: 7E560280
	s_mov_b64 exec, s[90:91]                                   // 000000006070: BEFE015A
	buffer_load_dword v43, v2, s[8:11], 0 idxen offset:256     // 000000006074: E0502100 80022B02
	s_mov_b32 exec_lo, -1                                      // 00000000607C: BEFE00C1
	s_mov_b32 exec_hi, -1                                      // 000000006080: BEFF00C1
	v_mfma_f32_16x16x16_bf16 v[140:143], v[60:61], a[40:41], v[140:143]// 000000006084: D3E1008C 1632513C
	v_mov_b32_e32 v54, 0                                       // 00000000608C: 7E6C0280
	s_mov_b64 exec, s[90:91]                                   // 000000006090: BEFE015A
	buffer_load_dword v54, v212, s[20:23], 0 idxen offset:256  // 000000006094: E0502100 800536D4
	s_mov_b32 exec_lo, -1                                      // 00000000609C: BEFE00C1
	s_mov_b32 exec_hi, -1                                      // 0000000060A0: BEFF00C1
	v_mov_b32_e32 v55, 0                                       // 0000000060A4: 7E6E0280
	s_mov_b64 exec, s[90:91]                                   // 0000000060A8: BEFE015A
	buffer_load_dword v55, v213, s[20:23], 0 idxen offset:256  // 0000000060AC: E0502100 800537D5
	s_mov_b32 exec_lo, -1                                      // 0000000060B4: BEFE00C1
	s_mov_b32 exec_hi, -1                                      // 0000000060B8: BEFF00C1
	v_add_u32_e32 v1, s68, v1                                  // 0000000060BC: 68020244
	v_add_u32_e32 v2, s68, v2                                  // 0000000060C0: 68040444
	v_add_u32_e32 v212, s99, v212                              // 0000000060C4: 69A9A863
	v_add_u32_e32 v213, s99, v213                              // 0000000060C8: 69ABAA63
	s_mov_b32 m0, s80                                          // 0000000060CC: BEFC0050
	v_add_u32_e32 v9, s69, v9                                  // 0000000060D0: 68121245
	v_mfma_f32_16x16x16_bf16 v[140:143], v[62:63], a[46:47], v[140:143]// 0000000060D4: D3E1008C 16325D3E
	s_cmp_ge_u32 s59, s73                                      // 0000000060DC: BF09493B
	s_cselect_b32 s66, s67, s66                                // 0000000060E0: 85424243
	s_addk_i32 s59, 0x10                                       // 0000000060E4: B73B0010
	s_nop 0                                                    // 0000000060E8: BF800000
	s_cmp_lt_i32 s59, s58                                      // 0000000060EC: BF043A3B
	s_cbranch_scc0 label_0A24                                  // 0000000060F0: BF8401E7
	s_waitcnt lgkmcnt(0)                                       // 0000000060F4: BF8CC07F
	s_barrier                                                  // 0000000060F8: BF8A0000
	v_mfma_f32_16x16x16_bf16 v[56:59], a[72:73], a[0:1], 0     // 0000000060FC: D3E10038 1A020148
	ds_write_b32 v11, v44 offset:13056                         // 000000006104: D81A3300 00002C0B
	ds_write_b32 v11, v45 offset:14112                         // 00000000610C: D81A3720 00002D0B
	ds_write_b32 v11, v46 offset:15232                         // 000000006114: D81A3B80 00002E0B
	v_mfma_f32_16x16x16_bf16 v[56:59], a[74:75], a[2:3], v[56:59]// 00000000611C: D3E10038 1CE2054A
	v_mul_f32_e32 v132, s47, v132                              // 000000006124: 0B09082F
	v_mul_f32_e32 v133, s47, v133                              // 000000006128: 0B0B0A2F
	v_mul_f32_e32 v134, s47, v134                              // 00000000612C: 0B0D0C2F
	v_mul_f32_e32 v135, s47, v135                              // 000000006130: 0B0F0E2F
	v_mfma_f32_16x16x16_bf16 v[56:59], a[76:77], a[4:5], v[56:59]// 000000006134: D3E10038 1CE2094C
	ds_write_b32 v11, v47 offset:16288                         // 00000000613C: D81A3FA0 00002F0B
	ds_write_b32 v11, v48 offset:17408                         // 000000006144: D81A4400 0000300B
	ds_write_b32 v11, v49 offset:18464                         // 00000000614C: D81A4820 0000310B
	v_mfma_f32_16x16x16_bf16 v[56:59], a[78:79], a[6:7], v[56:59]// 000000006154: D3E10038 1CE20D4E
	v_mul_f32_e32 v136, s47, v136                              // 00000000615C: 0B11102F
	v_mul_f32_e32 v137, s47, v137                              // 000000006160: 0B13122F
	v_mul_f32_e32 v138, s47, v138                              // 000000006164: 0B15142F
	v_mul_f32_e32 v139, s47, v139                              // 000000006168: 0B17162F
	v_mfma_f32_16x16x16_bf16 v[56:59], a[80:81], a[8:9], v[56:59]// 00000000616C: D3E10038 1CE21150
	ds_write_b64 v20, v[132:133] offset:28416                  // 000000006174: D89A6F00 00008414
	ds_write_b64 v20, v[134:135] offset:28928                  // 00000000617C: D89A7100 00008614
	v_mfma_f32_16x16x16_bf16 v[56:59], a[82:83], a[10:11], v[56:59]// 000000006184: D3E10038 1CE21552
	v_mul_f32_e32 v140, s47, v140                              // 00000000618C: 0B19182F
	v_mul_f32_e32 v141, s47, v141                              // 000000006190: 0B1B1A2F
	v_mul_f32_e32 v142, s47, v142                              // 000000006194: 0B1D1C2F
	v_mul_f32_e32 v143, s47, v143                              // 000000006198: 0B1F1E2F
	v_mfma_f32_16x16x16_bf16 v[56:59], a[84:85], a[12:13], v[56:59]// 00000000619C: D3E10038 1CE21954
	ds_write_b64 v20, v[136:137] offset:29440                  // 0000000061A4: D89A7300 00008814
	ds_write_b64 v20, v[138:139] offset:29952                  // 0000000061AC: D89A7500 00008A14
	v_mfma_f32_16x16x16_bf16 v[56:59], a[86:87], a[14:15], v[56:59]// 0000000061B4: D3E10038 1CE21D56
	ds_write_b64 v20, v[140:141] offset:30464                  // 0000000061BC: D89A7700 00008C14
	ds_write_b64 v20, v[142:143] offset:30976                  // 0000000061C4: D89A7900 00008E14
	v_mfma_f32_16x16x16_bf16 v[56:59], a[88:89], a[16:17], v[56:59]// 0000000061CC: D3E10038 1CE22158
	ds_read_b128 v[104:107], v12 offset:19584                  // 0000000061D4: D9FE4C80 6800000C
	v_mfma_f32_16x16x16_bf16 v[56:59], a[90:91], a[18:19], v[56:59]// 0000000061DC: D3E10038 1CE2255A
	ds_read_b128 v[108:111], v12 offset:20096                  // 0000000061E4: D9FE4E80 6C00000C
	v_mfma_f32_16x16x16_bf16 v[56:59], a[92:93], a[20:21], v[56:59]// 0000000061EC: D3E10038 1CE2295C
	ds_read_b128 v[112:115], v12 offset:21760                  // 0000000061F4: D9FE5500 7000000C
	ds_read_b128 v[116:119], v12 offset:22272                  // 0000000061FC: D9FE5700 7400000C
	v_mfma_f32_16x16x16_bf16 v[56:59], a[94:95], a[22:23], v[56:59]// 000000006204: D3E10038 1CE22D5E
	ds_read_b128 v[120:123], v12 offset:23936                  // 00000000620C: D9FE5D80 7800000C
	ds_read_b128 v[124:127], v12 offset:24448                  // 000000006214: D9FE5F80 7C00000C
	s_cmp_eq_i32 s44, 0                                        // 00000000621C: BF00802C
	s_cbranch_scc1 label_08AF                                  // 000000006220: BF850026
	s_cmp_lt_i32 s74, 4                                        // 000000006224: BF04844A
	s_cbranch_scc0 label_089E                                  // 000000006228: BF840013
	s_lshl_b32 s60, s74, 4                                     // 00000000622C: 8E3C844A
	v_sub_i32 v28, v214, s60                                   // 000000006230: D29D001C 000079D6
	v_cmp_gt_i32_e64 s[60:61], v28, 0                          // 000000006238: D0C4003C 0001011C
	v_cmp_gt_i32_e64 s[70:71], v28, 1                          // 000000006240: D0C40046 0001031C
	v_cndmask_b32_e64 v56, v56, v159, s[60:61]                 // 000000006248: D1000038 00F33F38
	v_cndmask_b32_e64 v57, v57, v159, s[70:71]                 // 000000006250: D1000039 011B3F39
	v_cmp_gt_i32_e64 s[60:61], v28, 2                          // 000000006258: D0C4003C 0001051C
	v_cmp_gt_i32_e64 s[70:71], v28, 3                          // 000000006260: D0C40046 0001071C
	v_cndmask_b32_e64 v58, v58, v159, s[60:61]                 // 000000006268: D100003A 00F33F3A
	v_cndmask_b32_e64 v59, v59, v159, s[70:71]                 // 000000006270: D100003B 011B3F3B

0000000000006278 <label_089E>:
	s_cmp_lt_i32 s100, 64                                      // 000000006278: BF04C064
	s_cbranch_scc0 label_08AF                                  // 00000000627C: BF84000F
	v_and_b32_e32 v28, 15, v0                                  // 000000006280: 2638008F
	v_mul_i32_i24_e64 v29, s46, 16                             // 000000006284: D106001D 0001202E
	v_add_u32_e32 v28, v28, v29                                // 00000000628C: 68383B1C
	v_cmp_lt_u32_e64 s[60:61], v28, s100                       // 000000006290: D0C9003C 0000C91C
	s_nop 1                                                    // 000000006298: BF800001
	v_cndmask_b32_e64 v56, v159, v56, s[60:61]                 // 00000000629C: D1000038 00F2719F
	v_cndmask_b32_e64 v57, v159, v57, s[60:61]                 // 0000000062A4: D1000039 00F2739F
	v_cndmask_b32_e64 v58, v159, v58, s[60:61]                 // 0000000062AC: D100003A 00F2759F
	v_cndmask_b32_e64 v59, v159, v59, s[60:61]                 // 0000000062B4: D100003B 00F2779F

00000000000062bc <label_08AF>:
	s_addk_i32 s74, 0x1                                        // 0000000062BC: B74A0001
	s_waitcnt lgkmcnt(6)                                       // 0000000062C0: BF8CC67F
	s_barrier                                                  // 0000000062C4: BF8A0000
	v_mfma_f32_16x16x16_bf16 v[64:67], v[80:81], a[48:49], 0   // 0000000062C8: D3E10040 12026150
	ds_read_b128 a[72:75], v12 offset:6528                     // 0000000062D0: DBFE1980 4800000C
	ds_read_b128 a[76:79], v12 offset:7040                     // 0000000062D8: DBFE1B80 4C00000C
	ds_write_b32 v11, v32                                      // 0000000062E0: D81A0000 0000200B
	ds_write_b32 v11, v33 offset:1056                          // 0000000062E8: D81A0420 0000210B
	v_mfma_f32_16x16x16_bf16 v[64:67], v[82:83], a[50:51], v[64:67]// 0000000062F0: D3E10040 15026552
	v_fma_f32 v56, v56, s57, -v128                             // 0000000062F8: D1CB0038 86007338
	v_fma_f32 v57, v57, s57, -v129                             // 000000006300: D1CB0039 86047339
	v_fma_f32 v58, v58, s57, -v130                             // 000000006308: D1CB003A 8608733A
	v_fma_f32 v59, v59, s57, -v131                             // 000000006310: D1CB003B 860C733B
	v_mfma_f32_16x16x16_bf16 v[64:67], v[84:85], a[52:53], v[64:67]// 000000006318: D3E10040 15026954
	ds_read_b128 a[80:83], v12 offset:8704                     // 000000006320: DBFE2200 5000000C
	ds_read_b128 a[84:87], v12 offset:9216                     // 000000006328: DBFE2400 5400000C
	ds_write_b32 v11, v34 offset:2176                          // 000000006330: D81A0880 0000220B
	v_mfma_f32_16x16x16_bf16 v[64:67], v[86:87], a[54:55], v[64:67]// 000000006338: D3E10040 15026D56
	v_exp_f32_e32 v56, v56                                     // 000000006340: 7E704138
	v_mfma_f32_16x16x16_bf16 v[64:67], v[88:89], a[56:57], v[64:67]// 000000006344: D3E10040 15027158
	ds_read_b128 a[88:91], v12 offset:10880                    // 00000000634C: DBFE2A80 5800000C
	ds_read_b128 a[92:95], v12 offset:11392                    // 000000006354: DBFE2C80 5C00000C
	ds_write_b32 v11, v35 offset:3232                          // 00000000635C: D81A0CA0 0000230B
	v_mfma_f32_16x16x16_bf16 v[64:67], v[90:91], a[58:59], v[64:67]// 000000006364: D3E10040 1502755A
	v_exp_f32_e32 v57, v57                                     // 00000000636C: 7E724139
	v_mfma_f32_16x16x16_bf16 v[64:67], v[92:93], a[60:61], v[64:67]// 000000006370: D3E10040 1502795C
	ds_read_b64 v[144:145], v19 offset:28416                   // 000000006378: D8EC6F00 90000013
	ds_read_b64 v[146:147], v19 offset:30464                   // 000000006380: D8EC7700 92000013
	ds_read_b64 v[148:149], v19 offset:32512                   // 000000006388: D8EC7F00 94000013
	ds_write_b32 v11, v36 offset:4352                          // 000000006390: D81A1100 0000240B
	v_mfma_f32_16x16x16_bf16 v[64:67], v[94:95], a[62:63], v[64:67]// 000000006398: D3E10040 15027D5E
	v_exp_f32_e32 v58, v58                                     // 0000000063A0: 7E74413A
	v_mfma_f32_16x16x16_bf16 v[64:67], v[96:97], a[64:65], v[64:67]// 0000000063A4: D3E10040 15028160
	ds_read_b64 v[150:151], v19 offset:34560                   // 0000000063AC: D8EC8700 96000013
	ds_read_b64 v[152:153], v19 offset:36608                   // 0000000063B4: D8EC8F00 98000013
	ds_read_b64 v[154:155], v19 offset:38656                   // 0000000063BC: D8EC9700 9A000013
	ds_write_b32 v11, v37 offset:5408                          // 0000000063C4: D81A1520 0000250B
	v_mfma_f32_16x16x16_bf16 v[64:67], v[98:99], a[66:67], v[64:67]// 0000000063CC: D3E10040 15028562
	v_exp_f32_e32 v59, v59                                     // 0000000063D4: 7E76413B
	v_mfma_f32_16x16x16_bf16 v[64:67], v[100:101], a[68:69], v[64:67]// 0000000063D8: D3E10040 15028964
	v_perm_b32 v156, v57, v56, s64                             // 0000000063E0: D1ED009C 01027139
	v_mfma_f32_16x16x16_bf16 v[64:67], v[102:103], a[70:71], v[64:67]// 0000000063E8: D3E10040 15028D66
	v_perm_b32 v157, v59, v58, s64                             // 0000000063F0: D1ED009D 0102753B
	v_add_u32_e32 v7, s66, v7                                  // 0000000063F8: 680E0E42
	v_add_u32_e32 v8, s66, v8                                  // 0000000063FC: 68101042
	s_waitcnt lgkmcnt(0)                                       // 000000006400: BF8CC07F
	s_barrier                                                  // 000000006404: BF8A0000
	v_mfma_f32_16x16x16_bf16 v[160:163], v[104:105], v[156:157], v[160:163]// 000000006408: D3E100A0 06833968
	v_subrev_f32_dpp v64, v158, v64 quad_perm:[0,0,0,0] row_mask:0xf bank_mask:0xf// 000000006410: 068080FA FF00009E
	v_subrev_f32_dpp v65, v158, v65 quad_perm:[1,1,1,1] row_mask:0xf bank_mask:0xf// 000000006418: 068282FA FF00559E
	buffer_atomic_add_f32 v144, v7, s[32:35], 0 offen          // 000000006420: E1341000 80089007
	v_mfma_f32_16x16x16_bf16 v[164:167], v[106:107], v[156:157], v[164:167]// 000000006428: D3E100A4 0693396A
	v_subrev_f32_dpp v66, v158, v66 quad_perm:[2,2,2,2] row_mask:0xf bank_mask:0xf// 000000006430: 068484FA FF00AA9E
	v_subrev_f32_dpp v67, v158, v67 quad_perm:[3,3,3,3] row_mask:0xf bank_mask:0xf// 000000006438: 068686FA FF00FF9E
	buffer_atomic_add_f32 v145, v8, s[32:35], 0 offen          // 000000006440: E1341000 80089108
	v_mfma_f32_16x16x16_bf16 v[168:171], v[108:109], v[156:157], v[168:171]// 000000006448: D3E100A8 06A3396C
	v_mul_f32_e32 v64, v56, v64                                // 000000006450: 0A808138
	v_mul_f32_e32 v65, v57, v65                                // 000000006454: 0A828339
	buffer_atomic_add_f32 v146, v7, s[32:35], 0 offen offset:128// 000000006458: E1341080 80089207
	v_mfma_f32_16x16x16_bf16 v[172:175], v[110:111], v[156:157], v[172:175]// 000000006460: D3E100AC 06B3396E
	v_mul_f32_e32 v66, v58, v66                                // 000000006468: 0A84853A
	v_mul_f32_e32 v67, v59, v67                                // 00000000646C: 0A86873B
	buffer_atomic_add_f32 v147, v8, s[32:35], 0 offen offset:128// 000000006470: E1341080 80089308
	v_mfma_f32_16x16x16_bf16 v[176:179], v[112:113], v[156:157], v[176:179]// 000000006478: D3E100B0 06C33970
	v_perm_b32 v64, v65, v64, s64                              // 000000006480: D1ED0040 01028141
	v_mfma_f32_16x16x16_bf16 v[180:183], v[114:115], v[156:157], v[180:183]// 000000006488: D3E100B4 06D33972
	v_perm_b32 v65, v67, v66, s64                              // 000000006490: D1ED0041 01028543
	v_mfma_f32_16x16x16_bf16 v[184:187], v[116:117], v[156:157], v[184:187]// 000000006498: D3E100B8 06E33974
	v_mov_b32_dpp v16, v64 quad_perm:[1,0,3,2] row_mask:0xf bank_mask:0xf// 0000000064A0: 7E2002FA FF00B140
	v_perm_b32 v56, v16, v64, v15                              // 0000000064A8: D1ED0038 043E8110
	buffer_atomic_add_f32 v148, v7, s[32:35], 0 offen offset:256// 0000000064B0: E1341100 80089407
	v_mfma_f32_16x16x16_bf16 v[188:191], v[118:119], v[156:157], v[188:191]// 0000000064B8: D3E100BC 06F33976
	v_mov_b32_dpp v16, v65 quad_perm:[1,0,3,2] row_mask:0xf bank_mask:0xf// 0000000064C0: 7E2002FA FF00B141
	v_perm_b32 v57, v16, v65, v15                              // 0000000064C8: D1ED0039 043E8310
	buffer_atomic_add_f32 v149, v8, s[32:35], 0 offen offset:256// 0000000064D0: E1341100 80089508
	v_mfma_f32_16x16x16_bf16 v[192:195], v[120:121], v[156:157], v[192:195]// 0000000064D8: D3E100C0 07033978
	ds_write_b32 v13, v68 offset:6528                          // 0000000064E0: D81A1980 0000440D
	ds_write_b32 v13, v69 offset:7584                          // 0000000064E8: D81A1DA0 0000450D
	v_mfma_f32_16x16x16_bf16 v[196:199], v[122:123], v[156:157], v[196:199]// 0000000064F0: D3E100C4 0713397A
	ds_write_b32 v18, v56 offset:26112                         // 0000000064F8: D81A6600 00003812
	ds_write_b32 v18, v57 offset:26656                         // 000000006500: D81A6820 00003912
	v_mfma_f32_16x16x16_bf16 v[200:203], v[124:125], v[156:157], v[200:203]// 000000006508: D3E100C8 0723397C
	ds_write_b32 v13, v70 offset:8704                          // 000000006510: D81A2200 0000460D
	ds_write_b32 v13, v71 offset:9760                          // 000000006518: D81A2620 0000470D
	v_mfma_f32_16x16x16_bf16 v[204:207], v[126:127], v[156:157], v[204:207]// 000000006520: D3E100CC 0733397E
	ds_write_b32 v13, v72 offset:10880                         // 000000006528: D81A2A80 0000480D
	ds_write_b32 v13, v73 offset:11936                         // 000000006530: D81A2EA0 0000490D
	s_barrier                                                  // 000000006538: BF8A0000
	v_mfma_f32_16x16x16_bf16 a[96:99], a[72:73], v[64:65], a[96:99]// 00000000653C: D3E18060 0D828148
	buffer_atomic_add_f32 v150, v7, s[32:35], 0 offen offset:384// 000000006544: E1341180 80089607
	buffer_atomic_add_f32 v151, v8, s[32:35], 0 offen offset:384// 00000000654C: E1341180 80089708
	v_mfma_f32_16x16x16_bf16 a[100:103], a[74:75], v[64:65], a[100:103]// 000000006554: D3E18064 0D92814A
	ds_read_b32 v128, v21 offset:40704                         // 00000000655C: D86C9F00 80000015
	ds_read_b32 v158, v21 offset:40960                         // 000000006564: D86CA000 9E000015
	v_mfma_f32_16x16x16_bf16 a[104:107], a[76:77], v[64:65], a[104:107]// 00000000656C: D3E18068 0DA2814C
	s_waitcnt lgkmcnt(6)                                       // 000000006574: BF8CC67F
	s_barrier                                                  // 000000006578: BF8A0000
	v_mfma_f32_16x16x16_bf16 a[108:111], a[78:79], v[64:65], a[108:111]// 00000000657C: D3E1806C 0DB2814E
	ds_read_b128 v[56:59], v17 offset:26112                    // 000000006584: D9FE6600 38000011
	v_mfma_f32_16x16x16_bf16 a[112:115], a[80:81], v[64:65], a[112:115]// 00000000658C: D3E18070 0DC28150
	s_mov_b64 exec, s[94:95]                                   // 000000006594: BEFE015E
	buffer_atomic_add_f32 v152, v7, s[32:35], 0 offen offset:512// 000000006598: E1341200 80089807
	s_mov_b32 exec_lo, -1                                      // 0000000065A0: BEFE00C1
	s_mov_b32 exec_hi, -1                                      // 0000000065A4: BEFF00C1
	v_mfma_f32_16x16x16_bf16 a[116:119], a[82:83], v[64:65], a[116:119]// 0000000065A8: D3E18074 0DD28152
	ds_read_b128 v[60:63], v17 offset:27264                    // 0000000065B0: D9FE6A80 3C000011
	v_mfma_f32_16x16x16_bf16 a[120:123], a[84:85], v[64:65], a[120:123]// 0000000065B8: D3E18078 0DE28154
	s_mov_b64 exec, s[94:95]                                   // 0000000065C0: BEFE015E
	buffer_atomic_add_f32 v153, v8, s[32:35], 0 offen offset:512// 0000000065C4: E1341200 80089908
	s_mov_b32 exec_lo, -1                                      // 0000000065CC: BEFE00C1
	s_mov_b32 exec_hi, -1                                      // 0000000065D0: BEFF00C1
	v_mfma_f32_16x16x16_bf16 a[124:127], a[86:87], v[64:65], a[124:127]// 0000000065D4: D3E1807C 0DF28156
	ds_write_b32 v13, v74 offset:19584                         // 0000000065DC: D81A4C80 00004A0D
	ds_write_b32 v13, v75 offset:20640                         // 0000000065E4: D81A50A0 00004B0D
	v_mfma_f32_16x16x16_bf16 a[128:131], a[88:89], v[64:65], a[128:131]// 0000000065EC: D3E18080 0E028158
	s_mov_b64 exec, s[96:97]                                   // 0000000065F4: BEFE0160
	buffer_atomic_add_f32 v154, v7, s[32:35], 0 offen offset:640// 0000000065F8: E1341280 80089A07
	s_mov_b32 exec_lo, -1                                      // 000000006600: BEFE00C1
	s_mov_b32 exec_hi, -1                                      // 000000006604: BEFF00C1
	v_mfma_f32_16x16x16_bf16 a[132:135], a[90:91], v[64:65], a[132:135]// 000000006608: D3E18084 0E12815A
	ds_write_b32 v13, v76 offset:21760                         // 000000006610: D81A5500 00004C0D
	ds_write_b32 v13, v77 offset:22816                         // 000000006618: D81A5920 00004D0D
	v_mfma_f32_16x16x16_bf16 a[136:139], a[92:93], v[64:65], a[136:139]// 000000006620: D3E18088 0E22815C
	s_mov_b64 exec, s[96:97]                                   // 000000006628: BEFE0160
	buffer_atomic_add_f32 v155, v8, s[32:35], 0 offen offset:640// 00000000662C: E1341280 80089B08
	s_mov_b32 exec_lo, -1                                      // 000000006634: BEFE00C1
	s_mov_b32 exec_hi, -1                                      // 000000006638: BEFF00C1
	v_mfma_f32_16x16x16_bf16 a[140:143], a[94:95], v[64:65], a[140:143]// 00000000663C: D3E1808C 0E32815E
	ds_write_b32 v13, v78 offset:23936                         // 000000006644: D81A5D80 00004E0D
	ds_write_b32 v13, v79 offset:24992                         // 00000000664C: D81A61A0 00004F0D
	s_waitcnt vmcnt(12) lgkmcnt(6)                             // 000000006654: BF8C067C
	s_barrier                                                  // 000000006658: BF8A0000
	v_mfma_f32_16x16x16_bf16 v[132:135], v[56:57], a[24:25], 0 // 00000000665C: D3E10084 12023138
	v_mul_f32_e32 v128, s48, v128                              // 000000006664: 0B010030
	v_perm_b32 v68, v39, v38, s63                              // 000000006668: D1ED0044 00FE4D27
	v_perm_b32 v69, v39, v38, s64                              // 000000006670: D1ED0045 01024D27
	v_perm_b32 v70, v41, v40, s63                              // 000000006678: D1ED0046 00FE5129
	v_mfma_f32_16x16x16_bf16 v[132:135], v[58:59], a[30:31], v[132:135]// 000000006680: D3E10084 16123D3A
	ds_read_b128 a[72:75], v10                                 // 000000006688: DBFE0000 4800000A
	ds_read_b128 a[76:79], v10 offset:512                      // 000000006690: DBFE0200 4C00000A
	ds_read_b128 a[80:83], v10 offset:2176                     // 000000006698: DBFE0880 5000000A
	buffer_load_dword v32, v1, s[8:11], 0 idxen                // 0000000066A0: E0502000 80022001
	buffer_load_dword v33, v2, s[8:11], 0 idxen                // 0000000066A8: E0502000 80022102
	v_mfma_f32_16x16x16_bf16 v[132:135], v[60:61], a[36:37], v[132:135]// 0000000066B0: D3E10084 1612493C
	v_perm_b32 v71, v41, v40, s64                              // 0000000066B8: D1ED0047 01025129
	v_perm_b32 v72, v43, v42, s63                              // 0000000066C0: D1ED0048 00FE552B
	v_perm_b32 v73, v43, v42, s64                              // 0000000066C8: D1ED0049 0102552B
	v_mfma_f32_16x16x16_bf16 v[132:135], v[62:63], a[42:43], v[132:135]// 0000000066D0: D3E10084 1612553E
	ds_read_b128 a[84:87], v10 offset:2688                     // 0000000066D8: DBFE0A80 5400000A
	ds_read_b128 a[88:91], v10 offset:4352                     // 0000000066E0: DBFE1100 5800000A
	ds_read_b128 a[92:95], v10 offset:4864                     // 0000000066E8: DBFE1300 5C00000A
	buffer_load_dword v34, v1, s[8:11], 0 idxen offset:128     // 0000000066F0: E0502080 80022201
	buffer_load_dword v35, v2, s[8:11], 0 idxen offset:128     // 0000000066F8: E0502080 80022302
	v_mfma_f32_16x16x16_bf16 v[136:139], v[56:57], a[26:27], 0 // 000000006700: D3E10088 12023538
	v_perm_b32 v74, v51, v50, s63                              // 000000006708: D1ED004A 00FE6533
	v_perm_b32 v75, v51, v50, s64                              // 000000006710: D1ED004B 01026533
	v_perm_b32 v76, v53, v52, s63                              // 000000006718: D1ED004C 00FE6935
	v_mov_b32_dpp v131, v128 quad_perm:[3,3,3,3] row_mask:0xf bank_mask:0xf// 000000006720: 7F0602FA FF00FF80
	v_mov_b32_dpp v130, v128 quad_perm:[2,2,2,2] row_mask:0xf bank_mask:0xf// 000000006728: 7F0402FA FF00AA80
	v_mfma_f32_16x16x16_bf16 v[136:139], v[58:59], a[32:33], v[136:139]// 000000006730: D3E10088 1622413A
	ds_read_b128 v[80:83], v10 offset:13056                    // 000000006738: D9FE3300 5000000A
	ds_read_b128 v[84:87], v10 offset:13568                    // 000000006740: D9FE3500 5400000A
	ds_read_b128 v[88:91], v10 offset:15232                    // 000000006748: D9FE3B80 5800000A
	buffer_load_dword v44, v212, s[20:23], 0 idxen             // 000000006750: E0502000 80052CD4
	buffer_load_dword v45, v213, s[20:23], 0 idxen             // 000000006758: E0502000 80052DD5
	v_mfma_f32_16x16x16_bf16 v[136:139], v[60:61], a[38:39], v[136:139]// 000000006760: D3E10088 16224D3C
	v_perm_b32 v77, v53, v52, s64                              // 000000006768: D1ED004D 01026935
	v_perm_b32 v78, v55, v54, s63                              // 000000006770: D1ED004E 00FE6D37
	v_perm_b32 v79, v55, v54, s64                              // 000000006778: D1ED004F 01026D37
	v_mov_b32_dpp v129, v128 quad_perm:[1,1,1,1] row_mask:0xf bank_mask:0xf// 000000006780: 7F0202FA FF005580
	v_mov_b32_dpp v128, v128 quad_perm:[0,0,0,0] row_mask:0xf bank_mask:0xf// 000000006788: 7F0002FA FF000080
	v_mfma_f32_16x16x16_bf16 v[136:139], v[62:63], a[44:45], v[136:139]// 000000006790: D3E10088 1622593E
	ds_read_b128 v[92:95], v10 offset:15744                    // 000000006798: D9FE3D80 5C00000A
	ds_read_b128 v[96:99], v10 offset:17408                    // 0000000067A0: D9FE4400 6000000A
	ds_read_b128 v[100:103], v10 offset:17920                  // 0000000067A8: D9FE4600 6400000A
	buffer_load_dword v46, v212, s[20:23], 0 idxen offset:128  // 0000000067B0: E0502080 80052ED4
	buffer_load_dword v47, v213, s[20:23], 0 idxen offset:128  // 0000000067B8: E0502080 80052FD5
	v_mfma_f32_16x16x16_bf16 v[140:143], v[56:57], a[28:29], 0 // 0000000067C0: D3E1008C 12023938
	s_add_u32 s60, 64, s59                                     // 0000000067C8: 803C3BC0
	s_cmp_lt_u32 s60, s58                                      // 0000000067CC: BF0A3A3C
	s_cselect_b32 s68, s68, 0                                  // 0000000067D0: 85448044
	s_cselect_b32 s99, s99, 0                                  // 0000000067D4: 85638063
	s_cselect_b32 s69, s69, 0                                  // 0000000067D8: 85458045
	v_mfma_f32_16x16x16_bf16 v[140:143], v[58:59], a[34:35], v[140:143]// 0000000067DC: D3E1008C 1632453A
	buffer_load_dword v9, s[24:27], 0 idxen lds                // 0000000067E4: E0512000 80060009
	v_mov_b32_e32 v36, 0                                       // 0000000067EC: 7E480280
	s_mov_b64 exec, s[90:91]                                   // 0000000067F0: BEFE015A
	buffer_load_dword v36, v1, s[8:11], 0 idxen offset:256     // 0000000067F4: E0502100 80022401
	s_mov_b32 exec_lo, -1                                      // 0000000067FC: BEFE00C1
	s_mov_b32 exec_hi, -1                                      // 000000006800: BEFF00C1
	v_mov_b32_e32 v37, 0                                       // 000000006804: 7E4A0280
	s_mov_b64 exec, s[90:91]                                   // 000000006808: BEFE015A
	buffer_load_dword v37, v2, s[8:11], 0 idxen offset:256     // 00000000680C: E0502100 80022502
	s_mov_b32 exec_lo, -1                                      // 000000006814: BEFE00C1
	s_mov_b32 exec_hi, -1                                      // 000000006818: BEFF00C1
	v_mfma_f32_16x16x16_bf16 v[140:143], v[60:61], a[40:41], v[140:143]// 00000000681C: D3E1008C 1632513C
	v_mov_b32_e32 v48, 0                                       // 000000006824: 7E600280
	s_mov_b64 exec, s[90:91]                                   // 000000006828: BEFE015A
	buffer_load_dword v48, v212, s[20:23], 0 idxen offset:256  // 00000000682C: E0502100 800530D4
	s_mov_b32 exec_lo, -1                                      // 000000006834: BEFE00C1
	s_mov_b32 exec_hi, -1                                      // 000000006838: BEFF00C1
	v_mov_b32_e32 v49, 0                                       // 00000000683C: 7E620280
	s_mov_b64 exec, s[90:91]                                   // 000000006840: BEFE015A
	buffer_load_dword v49, v213, s[20:23], 0 idxen offset:256  // 000000006844: E0502100 800531D5
	s_mov_b32 exec_lo, -1                                      // 00000000684C: BEFE00C1
	s_mov_b32 exec_hi, -1                                      // 000000006850: BEFF00C1
	v_add_u32_e32 v1, s68, v1                                  // 000000006854: 68020244
	v_add_u32_e32 v2, s68, v2                                  // 000000006858: 68040444
	v_add_u32_e32 v212, s99, v212                              // 00000000685C: 69A9A863
	v_add_u32_e32 v213, s99, v213                              // 000000006860: 69ABAA63
	s_mov_b32 m0, s81                                          // 000000006864: BEFC0051
	v_add_u32_e32 v9, s69, v9                                  // 000000006868: 68121245
	v_mfma_f32_16x16x16_bf16 v[140:143], v[62:63], a[46:47], v[140:143]// 00000000686C: D3E1008C 16325D3E
	s_cmp_ge_u32 s59, s73                                      // 000000006874: BF09493B
	s_cselect_b32 s66, s67, s66                                // 000000006878: 85424243
	s_addk_i32 s59, 0x10                                       // 00000000687C: B73B0010
	s_nop 0                                                    // 000000006880: BF800000
	s_cmp_lt_i32 s59, s58                                      // 000000006884: BF043A3B
	s_cbranch_scc0 label_0A24                                  // 000000006888: BF840001
	s_branch label_0657                                        // 00000000688C: BF82FC33

0000000000006890 <label_0A24>:
	s_nop 0                                                    // 000000006890: BF800000
	s_nop 0                                                    // 000000006894: BF800000
	s_branch label_0DF4                                        // 000000006898: BF8203CD

000000000000689c <label_0A27>:
	s_waitcnt lgkmcnt(0)                                       // 00000000689C: BF8CC07F
	s_barrier                                                  // 0000000068A0: BF8A0000
	v_mfma_f32_16x16x16_bf16 v[56:59], a[72:73], a[0:1], 0     // 0000000068A4: D3E10038 1A020148
	v_mul_f32_e32 v132, s47, v132                              // 0000000068AC: 0B09082F
	v_mul_f32_e32 v133, s47, v133                              // 0000000068B0: 0B0B0A2F
	v_mul_f32_e32 v134, s47, v134                              // 0000000068B4: 0B0D0C2F
	v_mul_f32_e32 v135, s47, v135                              // 0000000068B8: 0B0F0E2F
	v_mfma_f32_16x16x16_bf16 v[56:59], a[74:75], a[2:3], v[56:59]// 0000000068BC: D3E10038 1CE2054A
	ds_write_b32 v11, v50 offset:13056                         // 0000000068C4: D81A3300 0000320B
	ds_write_b32 v11, v51 offset:14112                         // 0000000068CC: D81A3720 0000330B
	ds_write_b32 v11, v52 offset:15232                         // 0000000068D4: D81A3B80 0000340B
	v_mfma_f32_16x16x16_bf16 v[56:59], a[76:77], a[4:5], v[56:59]// 0000000068DC: D3E10038 1CE2094C
	v_mul_f32_e32 v136, s47, v136                              // 0000000068E4: 0B11102F
	v_mul_f32_e32 v137, s47, v137                              // 0000000068E8: 0B13122F
	v_mul_f32_e32 v138, s47, v138                              // 0000000068EC: 0B15142F
	v_mul_f32_e32 v139, s47, v139                              // 0000000068F0: 0B17162F
	v_mfma_f32_16x16x16_bf16 v[56:59], a[78:79], a[6:7], v[56:59]// 0000000068F4: D3E10038 1CE20D4E
	ds_write_b32 v11, v53 offset:16288                         // 0000000068FC: D81A3FA0 0000350B
	ds_write_b32 v11, v54 offset:17408                         // 000000006904: D81A4400 0000360B
	ds_write_b32 v11, v55 offset:18464                         // 00000000690C: D81A4820 0000370B
	v_mfma_f32_16x16x16_bf16 v[56:59], a[80:81], a[8:9], v[56:59]// 000000006914: D3E10038 1CE21150
	v_mul_f32_e32 v140, s47, v140                              // 00000000691C: 0B19182F
	v_mul_f32_e32 v141, s47, v141                              // 000000006920: 0B1B1A2F
	v_mul_f32_e32 v142, s47, v142                              // 000000006924: 0B1D1C2F
	v_mul_f32_e32 v143, s47, v143                              // 000000006928: 0B1F1E2F
	v_mfma_f32_16x16x16_bf16 v[56:59], a[82:83], a[10:11], v[56:59]// 00000000692C: D3E10038 1CE21552
	ds_write_b64 v20, v[132:133] offset:28416                  // 000000006934: D89A6F00 00008414
	ds_write_b64 v20, v[134:135] offset:28928                  // 00000000693C: D89A7100 00008614
	v_mfma_f32_16x16x16_bf16 v[56:59], a[84:85], a[12:13], v[56:59]// 000000006944: D3E10038 1CE21954
	ds_write_b64 v20, v[136:137] offset:29440                  // 00000000694C: D89A7300 00008814
	ds_write_b64 v20, v[138:139] offset:29952                  // 000000006954: D89A7500 00008A14
	v_mfma_f32_16x16x16_bf16 v[56:59], a[86:87], a[14:15], v[56:59]// 00000000695C: D3E10038 1CE21D56
	ds_write_b64 v20, v[140:141] offset:30464                  // 000000006964: D89A7700 00008C14
	ds_write_b64 v20, v[142:143] offset:30976                  // 00000000696C: D89A7900 00008E14
	v_mfma_f32_16x16x16_bf16 v[56:59], a[88:89], a[16:17], v[56:59]// 000000006974: D3E10038 1CE22158
	ds_read_b128 v[104:107], v12 offset:19584                  // 00000000697C: D9FE4C80 6800000C
	v_mfma_f32_16x16x16_bf16 v[56:59], a[90:91], a[18:19], v[56:59]// 000000006984: D3E10038 1CE2255A
	ds_read_b128 v[108:111], v12 offset:20096                  // 00000000698C: D9FE4E80 6C00000C
	v_mfma_f32_16x16x16_bf16 v[56:59], a[92:93], a[20:21], v[56:59]// 000000006994: D3E10038 1CE2295C
	ds_read_b128 v[112:115], v12 offset:21760                  // 00000000699C: D9FE5500 7000000C
	ds_read_b128 v[116:119], v12 offset:22272                  // 0000000069A4: D9FE5700 7400000C
	v_mfma_f32_16x16x16_bf16 v[56:59], a[94:95], a[22:23], v[56:59]// 0000000069AC: D3E10038 1CE22D5E
	ds_read_b128 v[120:123], v12 offset:23936                  // 0000000069B4: D9FE5D80 7800000C
	ds_read_b128 v[124:127], v12 offset:24448                  // 0000000069BC: D9FE5F80 7C00000C
	s_cmp_eq_i32 s44, 0                                        // 0000000069C4: BF00802C
	s_cbranch_scc1 label_0A99                                  // 0000000069C8: BF850026
	s_cmp_lt_i32 s74, 4                                        // 0000000069CC: BF04844A
	s_cbranch_scc0 label_0A88                                  // 0000000069D0: BF840013
	s_lshl_b32 s60, s74, 4                                     // 0000000069D4: 8E3C844A
	v_sub_i32 v28, v214, s60                                   // 0000000069D8: D29D001C 000079D6
	v_cmp_gt_i32_e64 s[60:61], v28, 0                          // 0000000069E0: D0C4003C 0001011C
	v_cmp_gt_i32_e64 s[70:71], v28, 1                          // 0000000069E8: D0C40046 0001031C
	v_cndmask_b32_e64 v56, v56, v159, s[60:61]                 // 0000000069F0: D1000038 00F33F38
	v_cndmask_b32_e64 v57, v57, v159, s[70:71]                 // 0000000069F8: D1000039 011B3F39
	v_cmp_gt_i32_e64 s[60:61], v28, 2                          // 000000006A00: D0C4003C 0001051C
	v_cmp_gt_i32_e64 s[70:71], v28, 3                          // 000000006A08: D0C40046 0001071C
	v_cndmask_b32_e64 v58, v58, v159, s[60:61]                 // 000000006A10: D100003A 00F33F3A
	v_cndmask_b32_e64 v59, v59, v159, s[70:71]                 // 000000006A18: D100003B 011B3F3B

0000000000006a20 <label_0A88>:
	s_cmp_lt_i32 s100, 64                                      // 000000006A20: BF04C064
	s_cbranch_scc0 label_0A99                                  // 000000006A24: BF84000F
	v_and_b32_e32 v28, 15, v0                                  // 000000006A28: 2638008F
	v_mul_i32_i24_e64 v29, s46, 16                             // 000000006A2C: D106001D 0001202E
	v_add_u32_e32 v28, v28, v29                                // 000000006A34: 68383B1C
	v_cmp_lt_u32_e64 s[60:61], v28, s100                       // 000000006A38: D0C9003C 0000C91C
	s_nop 1                                                    // 000000006A40: BF800001
	v_cndmask_b32_e64 v56, v159, v56, s[60:61]                 // 000000006A44: D1000038 00F2719F
	v_cndmask_b32_e64 v57, v159, v57, s[60:61]                 // 000000006A4C: D1000039 00F2739F
	v_cndmask_b32_e64 v58, v159, v58, s[60:61]                 // 000000006A54: D100003A 00F2759F
	v_cndmask_b32_e64 v59, v159, v59, s[60:61]                 // 000000006A5C: D100003B 00F2779F

0000000000006a64 <label_0A99>:
	s_addk_i32 s74, 0x1                                        // 000000006A64: B74A0001
	s_waitcnt lgkmcnt(6)                                       // 000000006A68: BF8CC67F
	s_barrier                                                  // 000000006A6C: BF8A0000
	v_mfma_f32_16x16x16_bf16 v[64:67], v[80:81], a[48:49], 0   // 000000006A70: D3E10040 12026150
	v_fma_f32 v56, v56, s57, -v128                             // 000000006A78: D1CB0038 86007338
	v_fma_f32 v57, v57, s57, -v129                             // 000000006A80: D1CB0039 86047339
	v_fma_f32 v58, v58, s57, -v130                             // 000000006A88: D1CB003A 8608733A
	v_fma_f32 v59, v59, s57, -v131                             // 000000006A90: D1CB003B 860C733B
	v_mfma_f32_16x16x16_bf16 v[64:67], v[82:83], a[50:51], v[64:67]// 000000006A98: D3E10040 15026552
	ds_read_b128 a[72:75], v12 offset:6528                     // 000000006AA0: DBFE1980 4800000C
	ds_read_b128 a[76:79], v12 offset:7040                     // 000000006AA8: DBFE1B80 4C00000C
	ds_write_b32 v11, v38                                      // 000000006AB0: D81A0000 0000260B
	ds_write_b32 v11, v39 offset:1056                          // 000000006AB8: D81A0420 0000270B
	v_mfma_f32_16x16x16_bf16 v[64:67], v[84:85], a[52:53], v[64:67]// 000000006AC0: D3E10040 15026954
	v_exp_f32_e32 v56, v56                                     // 000000006AC8: 7E704138
	v_mfma_f32_16x16x16_bf16 v[64:67], v[86:87], a[54:55], v[64:67]// 000000006ACC: D3E10040 15026D56
	ds_read_b128 a[80:83], v12 offset:8704                     // 000000006AD4: DBFE2200 5000000C
	ds_read_b128 a[84:87], v12 offset:9216                     // 000000006ADC: DBFE2400 5400000C
	ds_write_b32 v11, v40 offset:2176                          // 000000006AE4: D81A0880 0000280B
	v_mfma_f32_16x16x16_bf16 v[64:67], v[88:89], a[56:57], v[64:67]// 000000006AEC: D3E10040 15027158
	v_exp_f32_e32 v57, v57                                     // 000000006AF4: 7E724139
	v_mfma_f32_16x16x16_bf16 v[64:67], v[90:91], a[58:59], v[64:67]// 000000006AF8: D3E10040 1502755A
	ds_read_b128 a[88:91], v12 offset:10880                    // 000000006B00: DBFE2A80 5800000C
	ds_read_b128 a[92:95], v12 offset:11392                    // 000000006B08: DBFE2C80 5C00000C
	ds_write_b32 v11, v41 offset:3232                          // 000000006B10: D81A0CA0 0000290B
	v_mfma_f32_16x16x16_bf16 v[64:67], v[92:93], a[60:61], v[64:67]// 000000006B18: D3E10040 1502795C
	v_exp_f32_e32 v58, v58                                     // 000000006B20: 7E74413A
	v_mfma_f32_16x16x16_bf16 v[64:67], v[94:95], a[62:63], v[64:67]// 000000006B24: D3E10040 15027D5E
	ds_read_b64 v[144:145], v19 offset:28416                   // 000000006B2C: D8EC6F00 90000013
	ds_read_b64 v[146:147], v19 offset:30464                   // 000000006B34: D8EC7700 92000013
	ds_read_b64 v[148:149], v19 offset:32512                   // 000000006B3C: D8EC7F00 94000013
	ds_write_b32 v11, v42 offset:4352                          // 000000006B44: D81A1100 00002A0B
	v_mfma_f32_16x16x16_bf16 v[64:67], v[96:97], a[64:65], v[64:67]// 000000006B4C: D3E10040 15028160
	v_exp_f32_e32 v59, v59                                     // 000000006B54: 7E76413B
	v_mfma_f32_16x16x16_bf16 v[64:67], v[98:99], a[66:67], v[64:67]// 000000006B58: D3E10040 15028562
	ds_read_b64 v[150:151], v19 offset:34560                   // 000000006B60: D8EC8700 96000013
	ds_read_b64 v[152:153], v19 offset:36608                   // 000000006B68: D8EC8F00 98000013
	ds_read_b64 v[154:155], v19 offset:38656                   // 000000006B70: D8EC9700 9A000013
	ds_write_b32 v11, v43 offset:5408                          // 000000006B78: D81A1520 00002B0B
	v_mfma_f32_16x16x16_bf16 v[64:67], v[100:101], a[68:69], v[64:67]// 000000006B80: D3E10040 15028964
	v_perm_b32 v156, v57, v56, s64                             // 000000006B88: D1ED009C 01027139
	v_mfma_f32_16x16x16_bf16 v[64:67], v[102:103], a[70:71], v[64:67]// 000000006B90: D3E10040 15028D66
	v_perm_b32 v157, v59, v58, s64                             // 000000006B98: D1ED009D 0102753B
	v_add_u32_e32 v7, s66, v7                                  // 000000006BA0: 680E0E42
	v_add_u32_e32 v8, s66, v8                                  // 000000006BA4: 68101042
	s_waitcnt lgkmcnt(0)                                       // 000000006BA8: BF8CC07F
	s_barrier                                                  // 000000006BAC: BF8A0000
	v_mfma_f32_16x16x16_bf16 v[160:163], v[104:105], v[156:157], v[160:163]// 000000006BB0: D3E100A0 06833968
	v_subrev_f32_dpp v64, v158, v64 quad_perm:[0,0,0,0] row_mask:0xf bank_mask:0xf// 000000006BB8: 068080FA FF00009E
	v_subrev_f32_dpp v65, v158, v65 quad_perm:[1,1,1,1] row_mask:0xf bank_mask:0xf// 000000006BC0: 068282FA FF00559E
	buffer_atomic_add_f32 v144, v7, s[32:35], 0 offen          // 000000006BC8: E1341000 80089007
	v_mfma_f32_16x16x16_bf16 v[164:167], v[106:107], v[156:157], v[164:167]// 000000006BD0: D3E100A4 0693396A
	v_subrev_f32_dpp v66, v158, v66 quad_perm:[2,2,2,2] row_mask:0xf bank_mask:0xf// 000000006BD8: 068484FA FF00AA9E
	v_subrev_f32_dpp v67, v158, v67 quad_perm:[3,3,3,3] row_mask:0xf bank_mask:0xf// 000000006BE0: 068686FA FF00FF9E
	buffer_atomic_add_f32 v145, v8, s[32:35], 0 offen          // 000000006BE8: E1341000 80089108
	v_mfma_f32_16x16x16_bf16 v[168:171], v[108:109], v[156:157], v[168:171]// 000000006BF0: D3E100A8 06A3396C
	v_mul_f32_e32 v64, v56, v64                                // 000000006BF8: 0A808138
	v_mul_f32_e32 v65, v57, v65                                // 000000006BFC: 0A828339
	buffer_atomic_add_f32 v146, v7, s[32:35], 0 offen offset:128// 000000006C00: E1341080 80089207
	v_mfma_f32_16x16x16_bf16 v[172:175], v[110:111], v[156:157], v[172:175]// 000000006C08: D3E100AC 06B3396E
	v_mul_f32_e32 v66, v58, v66                                // 000000006C10: 0A84853A
	v_mul_f32_e32 v67, v59, v67                                // 000000006C14: 0A86873B
	buffer_atomic_add_f32 v147, v8, s[32:35], 0 offen offset:128// 000000006C18: E1341080 80089308
	v_mfma_f32_16x16x16_bf16 v[176:179], v[112:113], v[156:157], v[176:179]// 000000006C20: D3E100B0 06C33970
	v_perm_b32 v64, v65, v64, s64                              // 000000006C28: D1ED0040 01028141
	v_mfma_f32_16x16x16_bf16 v[180:183], v[114:115], v[156:157], v[180:183]// 000000006C30: D3E100B4 06D33972
	v_perm_b32 v65, v67, v66, s64                              // 000000006C38: D1ED0041 01028543
	v_mfma_f32_16x16x16_bf16 v[184:187], v[116:117], v[156:157], v[184:187]// 000000006C40: D3E100B8 06E33974
	v_mov_b32_dpp v16, v64 quad_perm:[1,0,3,2] row_mask:0xf bank_mask:0xf// 000000006C48: 7E2002FA FF00B140
	v_perm_b32 v56, v16, v64, v15                              // 000000006C50: D1ED0038 043E8110
	buffer_atomic_add_f32 v148, v7, s[32:35], 0 offen offset:256// 000000006C58: E1341100 80089407
	v_mfma_f32_16x16x16_bf16 v[188:191], v[118:119], v[156:157], v[188:191]// 000000006C60: D3E100BC 06F33976
	v_mov_b32_dpp v16, v65 quad_perm:[1,0,3,2] row_mask:0xf bank_mask:0xf// 000000006C68: 7E2002FA FF00B141
	v_perm_b32 v57, v16, v65, v15                              // 000000006C70: D1ED0039 043E8310
	buffer_atomic_add_f32 v149, v8, s[32:35], 0 offen offset:256// 000000006C78: E1341100 80089508
	v_mfma_f32_16x16x16_bf16 v[192:195], v[120:121], v[156:157], v[192:195]// 000000006C80: D3E100C0 07033978
	ds_write_b32 v13, v68 offset:6528                          // 000000006C88: D81A1980 0000440D
	ds_write_b32 v13, v69 offset:7584                          // 000000006C90: D81A1DA0 0000450D
	v_mfma_f32_16x16x16_bf16 v[196:199], v[122:123], v[156:157], v[196:199]// 000000006C98: D3E100C4 0713397A
	ds_write_b32 v18, v56 offset:26112                         // 000000006CA0: D81A6600 00003812
	ds_write_b32 v18, v57 offset:26656                         // 000000006CA8: D81A6820 00003912
	v_mfma_f32_16x16x16_bf16 v[200:203], v[124:125], v[156:157], v[200:203]// 000000006CB0: D3E100C8 0723397C
	ds_write_b32 v13, v70 offset:8704                          // 000000006CB8: D81A2200 0000460D
	ds_write_b32 v13, v71 offset:9760                          // 000000006CC0: D81A2620 0000470D
	v_mfma_f32_16x16x16_bf16 v[204:207], v[126:127], v[156:157], v[204:207]// 000000006CC8: D3E100CC 0733397E
	ds_write_b32 v13, v72 offset:10880                         // 000000006CD0: D81A2A80 0000480D
	ds_write_b32 v13, v73 offset:11936                         // 000000006CD8: D81A2EA0 0000490D
	s_barrier                                                  // 000000006CE0: BF8A0000
	v_mfma_f32_16x16x16_bf16 a[96:99], a[72:73], v[64:65], a[96:99]// 000000006CE4: D3E18060 0D828148
	ds_read_b32 v128, v21 offset:41216                         // 000000006CEC: D86CA100 80000015
	ds_read_b32 v158, v21 offset:41472                         // 000000006CF4: D86CA200 9E000015
	v_mfma_f32_16x16x16_bf16 a[100:103], a[74:75], v[64:65], a[100:103]// 000000006CFC: D3E18064 0D92814A
	buffer_atomic_add_f32 v150, v7, s[32:35], 0 offen offset:384// 000000006D04: E1341180 80089607
	buffer_atomic_add_f32 v151, v8, s[32:35], 0 offen offset:384// 000000006D0C: E1341180 80089708
	v_mfma_f32_16x16x16_bf16 a[104:107], a[76:77], v[64:65], a[104:107]// 000000006D14: D3E18068 0DA2814C
	s_waitcnt lgkmcnt(6)                                       // 000000006D1C: BF8CC67F
	s_barrier                                                  // 000000006D20: BF8A0000
	v_mfma_f32_16x16x16_bf16 a[108:111], a[78:79], v[64:65], a[108:111]// 000000006D24: D3E1806C 0DB2814E
	s_mov_b64 exec, s[94:95]                                   // 000000006D2C: BEFE015E
	buffer_atomic_add_f32 v152, v7, s[32:35], 0 offen offset:512// 000000006D30: E1341200 80089807
	s_mov_b32 exec_lo, -1                                      // 000000006D38: BEFE00C1
	s_mov_b32 exec_hi, -1                                      // 000000006D3C: BEFF00C1
	v_mfma_f32_16x16x16_bf16 a[112:115], a[80:81], v[64:65], a[112:115]// 000000006D40: D3E18070 0DC28150
	ds_read_b128 v[56:59], v17 offset:26112                    // 000000006D48: D9FE6600 38000011
	v_mfma_f32_16x16x16_bf16 a[116:119], a[82:83], v[64:65], a[116:119]// 000000006D50: D3E18074 0DD28152
	s_mov_b64 exec, s[94:95]                                   // 000000006D58: BEFE015E
	buffer_atomic_add_f32 v153, v8, s[32:35], 0 offen offset:512// 000000006D5C: E1341200 80089908
	s_mov_b32 exec_lo, -1                                      // 000000006D64: BEFE00C1
	s_mov_b32 exec_hi, -1                                      // 000000006D68: BEFF00C1
	v_mfma_f32_16x16x16_bf16 a[120:123], a[84:85], v[64:65], a[120:123]// 000000006D6C: D3E18078 0DE28154
	ds_read_b128 v[60:63], v17 offset:27264                    // 000000006D74: D9FE6A80 3C000011
	v_mfma_f32_16x16x16_bf16 a[124:127], a[86:87], v[64:65], a[124:127]// 000000006D7C: D3E1807C 0DF28156
	s_mov_b64 exec, s[96:97]                                   // 000000006D84: BEFE0160
	buffer_atomic_add_f32 v154, v7, s[32:35], 0 offen offset:640// 000000006D88: E1341280 80089A07
	s_mov_b32 exec_lo, -1                                      // 000000006D90: BEFE00C1
	s_mov_b32 exec_hi, -1                                      // 000000006D94: BEFF00C1
	v_mfma_f32_16x16x16_bf16 a[128:131], a[88:89], v[64:65], a[128:131]// 000000006D98: D3E18080 0E028158
	ds_write_b32 v13, v74 offset:19584                         // 000000006DA0: D81A4C80 00004A0D
	ds_write_b32 v13, v75 offset:20640                         // 000000006DA8: D81A50A0 00004B0D
	v_mfma_f32_16x16x16_bf16 a[132:135], a[90:91], v[64:65], a[132:135]// 000000006DB0: D3E18084 0E12815A
	s_mov_b64 exec, s[96:97]                                   // 000000006DB8: BEFE0160
	buffer_atomic_add_f32 v155, v8, s[32:35], 0 offen offset:640// 000000006DBC: E1341280 80089B08
	s_mov_b32 exec_lo, -1                                      // 000000006DC4: BEFE00C1
	s_mov_b32 exec_hi, -1                                      // 000000006DC8: BEFF00C1
	v_mfma_f32_16x16x16_bf16 a[136:139], a[92:93], v[64:65], a[136:139]// 000000006DCC: D3E18088 0E22815C
	ds_write_b32 v13, v76 offset:21760                         // 000000006DD4: D81A5500 00004C0D
	ds_write_b32 v13, v77 offset:22816                         // 000000006DDC: D81A5920 00004D0D
	v_mfma_f32_16x16x16_bf16 a[140:143], a[94:95], v[64:65], a[140:143]// 000000006DE4: D3E1808C 0E32815E
	ds_write_b32 v13, v78 offset:23936                         // 000000006DEC: D81A5D80 00004E0D
	ds_write_b32 v13, v79 offset:24992                         // 000000006DF4: D81A61A0 00004F0D
	s_waitcnt vmcnt(12) lgkmcnt(6)                             // 000000006DFC: BF8C067C
	s_barrier                                                  // 000000006E00: BF8A0000
	v_mfma_f32_16x16x16_bf16 v[132:135], v[56:57], a[24:25], 0 // 000000006E04: D3E10084 12023138
	ds_read_b128 a[72:75], v10                                 // 000000006E0C: DBFE0000 4800000A
	ds_read_b128 a[76:79], v10 offset:512                      // 000000006E14: DBFE0200 4C00000A
	ds_read_b128 a[80:83], v10 offset:2176                     // 000000006E1C: DBFE0880 5000000A
	buffer_load_dword v38, v1, s[8:11], 0 idxen                // 000000006E24: E0502000 80022601
	buffer_load_dword v39, v2, s[8:11], 0 idxen                // 000000006E2C: E0502000 80022702
	v_mfma_f32_16x16x16_bf16 v[132:135], v[58:59], a[30:31], v[132:135]// 000000006E34: D3E10084 16123D3A
	v_mul_f32_e32 v128, s48, v128                              // 000000006E3C: 0B010030
	v_perm_b32 v68, v33, v32, s63                              // 000000006E40: D1ED0044 00FE4121
	v_perm_b32 v69, v33, v32, s64                              // 000000006E48: D1ED0045 01024121
	v_perm_b32 v70, v35, v34, s63                              // 000000006E50: D1ED0046 00FE4523
	v_mfma_f32_16x16x16_bf16 v[132:135], v[60:61], a[36:37], v[132:135]// 000000006E58: D3E10084 1612493C
	ds_read_b128 a[84:87], v10 offset:2688                     // 000000006E60: DBFE0A80 5400000A
	ds_read_b128 a[88:91], v10 offset:4352                     // 000000006E68: DBFE1100 5800000A
	ds_read_b128 a[92:95], v10 offset:4864                     // 000000006E70: DBFE1300 5C00000A
	buffer_load_dword v40, v1, s[8:11], 0 idxen offset:128     // 000000006E78: E0502080 80022801
	buffer_load_dword v41, v2, s[8:11], 0 idxen offset:128     // 000000006E80: E0502080 80022902
	v_mfma_f32_16x16x16_bf16 v[132:135], v[62:63], a[42:43], v[132:135]// 000000006E88: D3E10084 1612553E
	v_perm_b32 v71, v35, v34, s64                              // 000000006E90: D1ED0047 01024523
	v_perm_b32 v72, v37, v36, s63                              // 000000006E98: D1ED0048 00FE4925
	v_perm_b32 v73, v37, v36, s64                              // 000000006EA0: D1ED0049 01024925
	v_mfma_f32_16x16x16_bf16 v[136:139], v[56:57], a[26:27], 0 // 000000006EA8: D3E10088 12023538
	ds_read_b128 v[80:83], v10 offset:13056                    // 000000006EB0: D9FE3300 5000000A
	ds_read_b128 v[84:87], v10 offset:13568                    // 000000006EB8: D9FE3500 5400000A
	ds_read_b128 v[88:91], v10 offset:15232                    // 000000006EC0: D9FE3B80 5800000A
	buffer_load_dword v50, v212, s[20:23], 0 idxen             // 000000006EC8: E0502000 800532D4
	buffer_load_dword v51, v213, s[20:23], 0 idxen             // 000000006ED0: E0502000 800533D5
	v_mfma_f32_16x16x16_bf16 v[136:139], v[58:59], a[32:33], v[136:139]// 000000006ED8: D3E10088 1622413A
	v_perm_b32 v74, v45, v44, s63                              // 000000006EE0: D1ED004A 00FE592D
	v_perm_b32 v75, v45, v44, s64                              // 000000006EE8: D1ED004B 0102592D
	v_perm_b32 v76, v47, v46, s63                              // 000000006EF0: D1ED004C 00FE5D2F
	v_mov_b32_dpp v131, v128 quad_perm:[3,3,3,3] row_mask:0xf bank_mask:0xf// 000000006EF8: 7F0602FA FF00FF80
	v_mov_b32_dpp v130, v128 quad_perm:[2,2,2,2] row_mask:0xf bank_mask:0xf// 000000006F00: 7F0402FA FF00AA80
	v_mfma_f32_16x16x16_bf16 v[136:139], v[60:61], a[38:39], v[136:139]// 000000006F08: D3E10088 16224D3C
	ds_read_b128 v[92:95], v10 offset:15744                    // 000000006F10: D9FE3D80 5C00000A
	ds_read_b128 v[96:99], v10 offset:17408                    // 000000006F18: D9FE4400 6000000A
	ds_read_b128 v[100:103], v10 offset:17920                  // 000000006F20: D9FE4600 6400000A
	buffer_load_dword v52, v212, s[20:23], 0 idxen offset:128  // 000000006F28: E0502080 800534D4
	buffer_load_dword v53, v213, s[20:23], 0 idxen offset:128  // 000000006F30: E0502080 800535D5
	v_mfma_f32_16x16x16_bf16 v[136:139], v[62:63], a[44:45], v[136:139]// 000000006F38: D3E10088 1622593E
	v_perm_b32 v77, v47, v46, s64                              // 000000006F40: D1ED004D 01025D2F
	v_perm_b32 v78, v49, v48, s63                              // 000000006F48: D1ED004E 00FE6131
	v_perm_b32 v79, v49, v48, s64                              // 000000006F50: D1ED004F 01026131
	v_mov_b32_dpp v129, v128 quad_perm:[1,1,1,1] row_mask:0xf bank_mask:0xf// 000000006F58: 7F0202FA FF005580
	v_mov_b32_dpp v128, v128 quad_perm:[0,0,0,0] row_mask:0xf bank_mask:0xf// 000000006F60: 7F0002FA FF000080
	v_mfma_f32_16x16x16_bf16 v[140:143], v[56:57], a[28:29], 0 // 000000006F68: D3E1008C 12023938
	buffer_load_dword v9, s[24:27], 0 idxen lds                // 000000006F70: E0512000 80060009
	v_mov_b32_e32 v42, 0                                       // 000000006F78: 7E540280
	s_mov_b64 exec, s[90:91]                                   // 000000006F7C: BEFE015A
	buffer_load_dword v42, v1, s[8:11], 0 idxen offset:256     // 000000006F80: E0502100 80022A01
	s_mov_b32 exec_lo, -1                                      // 000000006F88: BEFE00C1
	s_mov_b32 exec_hi, -1                                      // 000000006F8C: BEFF00C1
	v_mov_b32_e32 v43, 0                                       // 000000006F90: 7E560280
	s_mov_b64 exec, s[90:91]                                   // 000000006F94: BEFE015A
	buffer_load_dword v43, v2, s[8:11], 0 idxen offset:256     // 000000006F98: E0502100 80022B02
	s_mov_b32 exec_lo, -1                                      // 000000006FA0: BEFE00C1
	s_mov_b32 exec_hi, -1                                      // 000000006FA4: BEFF00C1
	v_mfma_f32_16x16x16_bf16 v[140:143], v[58:59], a[34:35], v[140:143]// 000000006FA8: D3E1008C 1632453A
	s_add_u32 s60, 64, s59                                     // 000000006FB0: 803C3BC0
	s_cmp_lt_u32 s60, s58                                      // 000000006FB4: BF0A3A3C
	s_cselect_b32 s68, s68, 0                                  // 000000006FB8: 85448044
	s_cselect_b32 s99, s99, 0                                  // 000000006FBC: 85638063
	s_cselect_b32 s69, s69, 0                                  // 000000006FC0: 85458045
	v_mfma_f32_16x16x16_bf16 v[140:143], v[60:61], a[40:41], v[140:143]// 000000006FC4: D3E1008C 1632513C
	v_mov_b32_e32 v54, 0                                       // 000000006FCC: 7E6C0280
	s_mov_b64 exec, s[90:91]                                   // 000000006FD0: BEFE015A
	buffer_load_dword v54, v212, s[20:23], 0 idxen offset:256  // 000000006FD4: E0502100 800536D4
	s_mov_b32 exec_lo, -1                                      // 000000006FDC: BEFE00C1
	s_mov_b32 exec_hi, -1                                      // 000000006FE0: BEFF00C1
	v_mov_b32_e32 v55, 0                                       // 000000006FE4: 7E6E0280
	s_mov_b64 exec, s[90:91]                                   // 000000006FE8: BEFE015A
	buffer_load_dword v55, v213, s[20:23], 0 idxen offset:256  // 000000006FEC: E0502100 800537D5
	s_mov_b32 exec_lo, -1                                      // 000000006FF4: BEFE00C1
	s_mov_b32 exec_hi, -1                                      // 000000006FF8: BEFF00C1
	v_add_u32_e32 v1, s68, v1                                  // 000000006FFC: 68020244
	v_add_u32_e32 v2, s68, v2                                  // 000000007000: 68040444
	v_add_u32_e32 v212, s99, v212                              // 000000007004: 69A9A863
	v_add_u32_e32 v213, s99, v213                              // 000000007008: 69ABAA63
	s_mov_b32 m0, s80                                          // 00000000700C: BEFC0050
	v_add_u32_e32 v9, s69, v9                                  // 000000007010: 68121245
	v_mfma_f32_16x16x16_bf16 v[140:143], v[62:63], a[46:47], v[140:143]// 000000007014: D3E1008C 16325D3E
	s_cmp_ge_u32 s59, s73                                      // 00000000701C: BF09493B
	s_cselect_b32 s66, s67, s66                                // 000000007020: 85424243
	s_addk_i32 s59, 0x10                                       // 000000007024: B73B0010
	s_nop 0                                                    // 000000007028: BF800000
	s_cmp_lt_i32 s59, s58                                      // 00000000702C: BF043A3B
	s_cbranch_scc0 label_0A24                                  // 000000007030: BF84FE17
	s_waitcnt lgkmcnt(0)                                       // 000000007034: BF8CC07F
	s_barrier                                                  // 000000007038: BF8A0000
	v_mfma_f32_16x16x16_bf16 v[56:59], a[72:73], a[0:1], 0     // 00000000703C: D3E10038 1A020148
	v_mul_f32_e32 v132, s47, v132                              // 000000007044: 0B09082F
	v_mul_f32_e32 v133, s47, v133                              // 000000007048: 0B0B0A2F
	v_mul_f32_e32 v134, s47, v134                              // 00000000704C: 0B0D0C2F
	v_mul_f32_e32 v135, s47, v135                              // 000000007050: 0B0F0E2F
	v_mfma_f32_16x16x16_bf16 v[56:59], a[74:75], a[2:3], v[56:59]// 000000007054: D3E10038 1CE2054A
	ds_write_b32 v11, v44 offset:13056                         // 00000000705C: D81A3300 00002C0B
	ds_write_b32 v11, v45 offset:14112                         // 000000007064: D81A3720 00002D0B
	ds_write_b32 v11, v46 offset:15232                         // 00000000706C: D81A3B80 00002E0B
	v_mfma_f32_16x16x16_bf16 v[56:59], a[76:77], a[4:5], v[56:59]// 000000007074: D3E10038 1CE2094C
	v_mul_f32_e32 v136, s47, v136                              // 00000000707C: 0B11102F
	v_mul_f32_e32 v137, s47, v137                              // 000000007080: 0B13122F
	v_mul_f32_e32 v138, s47, v138                              // 000000007084: 0B15142F
	v_mul_f32_e32 v139, s47, v139                              // 000000007088: 0B17162F
	v_mfma_f32_16x16x16_bf16 v[56:59], a[78:79], a[6:7], v[56:59]// 00000000708C: D3E10038 1CE20D4E
	ds_write_b32 v11, v47 offset:16288                         // 000000007094: D81A3FA0 00002F0B
	ds_write_b32 v11, v48 offset:17408                         // 00000000709C: D81A4400 0000300B
	ds_write_b32 v11, v49 offset:18464                         // 0000000070A4: D81A4820 0000310B
	v_mfma_f32_16x16x16_bf16 v[56:59], a[80:81], a[8:9], v[56:59]// 0000000070AC: D3E10038 1CE21150
	v_mul_f32_e32 v140, s47, v140                              // 0000000070B4: 0B19182F
	v_mul_f32_e32 v141, s47, v141                              // 0000000070B8: 0B1B1A2F
	v_mul_f32_e32 v142, s47, v142                              // 0000000070BC: 0B1D1C2F
	v_mul_f32_e32 v143, s47, v143                              // 0000000070C0: 0B1F1E2F
	v_mfma_f32_16x16x16_bf16 v[56:59], a[82:83], a[10:11], v[56:59]// 0000000070C4: D3E10038 1CE21552
	ds_write_b64 v20, v[132:133] offset:28416                  // 0000000070CC: D89A6F00 00008414
	ds_write_b64 v20, v[134:135] offset:28928                  // 0000000070D4: D89A7100 00008614
	v_mfma_f32_16x16x16_bf16 v[56:59], a[84:85], a[12:13], v[56:59]// 0000000070DC: D3E10038 1CE21954
	ds_write_b64 v20, v[136:137] offset:29440                  // 0000000070E4: D89A7300 00008814
	ds_write_b64 v20, v[138:139] offset:29952                  // 0000000070EC: D89A7500 00008A14
	v_mfma_f32_16x16x16_bf16 v[56:59], a[86:87], a[14:15], v[56:59]// 0000000070F4: D3E10038 1CE21D56
	ds_write_b64 v20, v[140:141] offset:30464                  // 0000000070FC: D89A7700 00008C14
	ds_write_b64 v20, v[142:143] offset:30976                  // 000000007104: D89A7900 00008E14
	v_mfma_f32_16x16x16_bf16 v[56:59], a[88:89], a[16:17], v[56:59]// 00000000710C: D3E10038 1CE22158
	ds_read_b128 v[104:107], v12 offset:19584                  // 000000007114: D9FE4C80 6800000C
	v_mfma_f32_16x16x16_bf16 v[56:59], a[90:91], a[18:19], v[56:59]// 00000000711C: D3E10038 1CE2255A
	ds_read_b128 v[108:111], v12 offset:20096                  // 000000007124: D9FE4E80 6C00000C
	v_mfma_f32_16x16x16_bf16 v[56:59], a[92:93], a[20:21], v[56:59]// 00000000712C: D3E10038 1CE2295C
	ds_read_b128 v[112:115], v12 offset:21760                  // 000000007134: D9FE5500 7000000C
	ds_read_b128 v[116:119], v12 offset:22272                  // 00000000713C: D9FE5700 7400000C
	v_mfma_f32_16x16x16_bf16 v[56:59], a[94:95], a[22:23], v[56:59]// 000000007144: D3E10038 1CE22D5E
	ds_read_b128 v[120:123], v12 offset:23936                  // 00000000714C: D9FE5D80 7800000C
	ds_read_b128 v[124:127], v12 offset:24448                  // 000000007154: D9FE5F80 7C00000C
	s_cmp_eq_i32 s44, 0                                        // 00000000715C: BF00802C
	s_cbranch_scc1 label_0C7F                                  // 000000007160: BF850026
	s_cmp_lt_i32 s74, 4                                        // 000000007164: BF04844A
	s_cbranch_scc0 label_0C6E                                  // 000000007168: BF840013
	s_lshl_b32 s60, s74, 4                                     // 00000000716C: 8E3C844A
	v_sub_i32 v28, v214, s60                                   // 000000007170: D29D001C 000079D6
	v_cmp_gt_i32_e64 s[60:61], v28, 0                          // 000000007178: D0C4003C 0001011C
	v_cmp_gt_i32_e64 s[70:71], v28, 1                          // 000000007180: D0C40046 0001031C
	v_cndmask_b32_e64 v56, v56, v159, s[60:61]                 // 000000007188: D1000038 00F33F38
	v_cndmask_b32_e64 v57, v57, v159, s[70:71]                 // 000000007190: D1000039 011B3F39
	v_cmp_gt_i32_e64 s[60:61], v28, 2                          // 000000007198: D0C4003C 0001051C
	v_cmp_gt_i32_e64 s[70:71], v28, 3                          // 0000000071A0: D0C40046 0001071C
	v_cndmask_b32_e64 v58, v58, v159, s[60:61]                 // 0000000071A8: D100003A 00F33F3A
	v_cndmask_b32_e64 v59, v59, v159, s[70:71]                 // 0000000071B0: D100003B 011B3F3B

00000000000071b8 <label_0C6E>:
	s_cmp_lt_i32 s100, 64                                      // 0000000071B8: BF04C064
	s_cbranch_scc0 label_0C7F                                  // 0000000071BC: BF84000F
	v_and_b32_e32 v28, 15, v0                                  // 0000000071C0: 2638008F
	v_mul_i32_i24_e64 v29, s46, 16                             // 0000000071C4: D106001D 0001202E
	v_add_u32_e32 v28, v28, v29                                // 0000000071CC: 68383B1C
	v_cmp_lt_u32_e64 s[60:61], v28, s100                       // 0000000071D0: D0C9003C 0000C91C
	s_nop 1                                                    // 0000000071D8: BF800001
	v_cndmask_b32_e64 v56, v159, v56, s[60:61]                 // 0000000071DC: D1000038 00F2719F
	v_cndmask_b32_e64 v57, v159, v57, s[60:61]                 // 0000000071E4: D1000039 00F2739F
	v_cndmask_b32_e64 v58, v159, v58, s[60:61]                 // 0000000071EC: D100003A 00F2759F
	v_cndmask_b32_e64 v59, v159, v59, s[60:61]                 // 0000000071F4: D100003B 00F2779F

00000000000071fc <label_0C7F>:
	s_addk_i32 s74, 0x1                                        // 0000000071FC: B74A0001
	s_waitcnt lgkmcnt(6)                                       // 000000007200: BF8CC67F
	s_barrier                                                  // 000000007204: BF8A0000
	v_mfma_f32_16x16x16_bf16 v[64:67], v[80:81], a[48:49], 0   // 000000007208: D3E10040 12026150
	v_fma_f32 v56, v56, s57, -v128                             // 000000007210: D1CB0038 86007338
	v_fma_f32 v57, v57, s57, -v129                             // 000000007218: D1CB0039 86047339
	v_fma_f32 v58, v58, s57, -v130                             // 000000007220: D1CB003A 8608733A
	v_fma_f32 v59, v59, s57, -v131                             // 000000007228: D1CB003B 860C733B
	v_mfma_f32_16x16x16_bf16 v[64:67], v[82:83], a[50:51], v[64:67]// 000000007230: D3E10040 15026552
	ds_read_b128 a[72:75], v12 offset:6528                     // 000000007238: DBFE1980 4800000C
	ds_read_b128 a[76:79], v12 offset:7040                     // 000000007240: DBFE1B80 4C00000C
	ds_write_b32 v11, v32                                      // 000000007248: D81A0000 0000200B
	ds_write_b32 v11, v33 offset:1056                          // 000000007250: D81A0420 0000210B
	v_mfma_f32_16x16x16_bf16 v[64:67], v[84:85], a[52:53], v[64:67]// 000000007258: D3E10040 15026954
	v_exp_f32_e32 v56, v56                                     // 000000007260: 7E704138
	v_mfma_f32_16x16x16_bf16 v[64:67], v[86:87], a[54:55], v[64:67]// 000000007264: D3E10040 15026D56
	ds_read_b128 a[80:83], v12 offset:8704                     // 00000000726C: DBFE2200 5000000C
	ds_read_b128 a[84:87], v12 offset:9216                     // 000000007274: DBFE2400 5400000C
	ds_write_b32 v11, v34 offset:2176                          // 00000000727C: D81A0880 0000220B
	v_mfma_f32_16x16x16_bf16 v[64:67], v[88:89], a[56:57], v[64:67]// 000000007284: D3E10040 15027158
	v_exp_f32_e32 v57, v57                                     // 00000000728C: 7E724139
	v_mfma_f32_16x16x16_bf16 v[64:67], v[90:91], a[58:59], v[64:67]// 000000007290: D3E10040 1502755A
	ds_read_b128 a[88:91], v12 offset:10880                    // 000000007298: DBFE2A80 5800000C
	ds_read_b128 a[92:95], v12 offset:11392                    // 0000000072A0: DBFE2C80 5C00000C
	ds_write_b32 v11, v35 offset:3232                          // 0000000072A8: D81A0CA0 0000230B
	v_mfma_f32_16x16x16_bf16 v[64:67], v[92:93], a[60:61], v[64:67]// 0000000072B0: D3E10040 1502795C
	v_exp_f32_e32 v58, v58                                     // 0000000072B8: 7E74413A
	v_mfma_f32_16x16x16_bf16 v[64:67], v[94:95], a[62:63], v[64:67]// 0000000072BC: D3E10040 15027D5E
	ds_read_b64 v[144:145], v19 offset:28416                   // 0000000072C4: D8EC6F00 90000013
	ds_read_b64 v[146:147], v19 offset:30464                   // 0000000072CC: D8EC7700 92000013
	ds_read_b64 v[148:149], v19 offset:32512                   // 0000000072D4: D8EC7F00 94000013
	ds_write_b32 v11, v36 offset:4352                          // 0000000072DC: D81A1100 0000240B
	v_mfma_f32_16x16x16_bf16 v[64:67], v[96:97], a[64:65], v[64:67]// 0000000072E4: D3E10040 15028160
	v_exp_f32_e32 v59, v59                                     // 0000000072EC: 7E76413B
	v_mfma_f32_16x16x16_bf16 v[64:67], v[98:99], a[66:67], v[64:67]// 0000000072F0: D3E10040 15028562
	ds_read_b64 v[150:151], v19 offset:34560                   // 0000000072F8: D8EC8700 96000013
	ds_read_b64 v[152:153], v19 offset:36608                   // 000000007300: D8EC8F00 98000013
	ds_read_b64 v[154:155], v19 offset:38656                   // 000000007308: D8EC9700 9A000013
	ds_write_b32 v11, v37 offset:5408                          // 000000007310: D81A1520 0000250B
	v_mfma_f32_16x16x16_bf16 v[64:67], v[100:101], a[68:69], v[64:67]// 000000007318: D3E10040 15028964
	v_perm_b32 v156, v57, v56, s64                             // 000000007320: D1ED009C 01027139
	v_mfma_f32_16x16x16_bf16 v[64:67], v[102:103], a[70:71], v[64:67]// 000000007328: D3E10040 15028D66
	v_perm_b32 v157, v59, v58, s64                             // 000000007330: D1ED009D 0102753B
	v_add_u32_e32 v7, s66, v7                                  // 000000007338: 680E0E42
	v_add_u32_e32 v8, s66, v8                                  // 00000000733C: 68101042
	s_waitcnt lgkmcnt(0)                                       // 000000007340: BF8CC07F
	s_barrier                                                  // 000000007344: BF8A0000
	v_mfma_f32_16x16x16_bf16 v[160:163], v[104:105], v[156:157], v[160:163]// 000000007348: D3E100A0 06833968
	v_subrev_f32_dpp v64, v158, v64 quad_perm:[0,0,0,0] row_mask:0xf bank_mask:0xf// 000000007350: 068080FA FF00009E
	v_subrev_f32_dpp v65, v158, v65 quad_perm:[1,1,1,1] row_mask:0xf bank_mask:0xf// 000000007358: 068282FA FF00559E
	buffer_atomic_add_f32 v144, v7, s[32:35], 0 offen          // 000000007360: E1341000 80089007
	v_mfma_f32_16x16x16_bf16 v[164:167], v[106:107], v[156:157], v[164:167]// 000000007368: D3E100A4 0693396A
	v_subrev_f32_dpp v66, v158, v66 quad_perm:[2,2,2,2] row_mask:0xf bank_mask:0xf// 000000007370: 068484FA FF00AA9E
	v_subrev_f32_dpp v67, v158, v67 quad_perm:[3,3,3,3] row_mask:0xf bank_mask:0xf// 000000007378: 068686FA FF00FF9E
	buffer_atomic_add_f32 v145, v8, s[32:35], 0 offen          // 000000007380: E1341000 80089108
	v_mfma_f32_16x16x16_bf16 v[168:171], v[108:109], v[156:157], v[168:171]// 000000007388: D3E100A8 06A3396C
	v_mul_f32_e32 v64, v56, v64                                // 000000007390: 0A808138
	v_mul_f32_e32 v65, v57, v65                                // 000000007394: 0A828339
	buffer_atomic_add_f32 v146, v7, s[32:35], 0 offen offset:128// 000000007398: E1341080 80089207
	v_mfma_f32_16x16x16_bf16 v[172:175], v[110:111], v[156:157], v[172:175]// 0000000073A0: D3E100AC 06B3396E
	v_mul_f32_e32 v66, v58, v66                                // 0000000073A8: 0A84853A
	v_mul_f32_e32 v67, v59, v67                                // 0000000073AC: 0A86873B
	buffer_atomic_add_f32 v147, v8, s[32:35], 0 offen offset:128// 0000000073B0: E1341080 80089308
	v_mfma_f32_16x16x16_bf16 v[176:179], v[112:113], v[156:157], v[176:179]// 0000000073B8: D3E100B0 06C33970
	v_perm_b32 v64, v65, v64, s64                              // 0000000073C0: D1ED0040 01028141
	v_mfma_f32_16x16x16_bf16 v[180:183], v[114:115], v[156:157], v[180:183]// 0000000073C8: D3E100B4 06D33972
	v_perm_b32 v65, v67, v66, s64                              // 0000000073D0: D1ED0041 01028543
	v_mfma_f32_16x16x16_bf16 v[184:187], v[116:117], v[156:157], v[184:187]// 0000000073D8: D3E100B8 06E33974
	v_mov_b32_dpp v16, v64 quad_perm:[1,0,3,2] row_mask:0xf bank_mask:0xf// 0000000073E0: 7E2002FA FF00B140
	v_perm_b32 v56, v16, v64, v15                              // 0000000073E8: D1ED0038 043E8110
	buffer_atomic_add_f32 v148, v7, s[32:35], 0 offen offset:256// 0000000073F0: E1341100 80089407
	v_mfma_f32_16x16x16_bf16 v[188:191], v[118:119], v[156:157], v[188:191]// 0000000073F8: D3E100BC 06F33976
	v_mov_b32_dpp v16, v65 quad_perm:[1,0,3,2] row_mask:0xf bank_mask:0xf// 000000007400: 7E2002FA FF00B141
	v_perm_b32 v57, v16, v65, v15                              // 000000007408: D1ED0039 043E8310
	buffer_atomic_add_f32 v149, v8, s[32:35], 0 offen offset:256// 000000007410: E1341100 80089508
	v_mfma_f32_16x16x16_bf16 v[192:195], v[120:121], v[156:157], v[192:195]// 000000007418: D3E100C0 07033978
	ds_write_b32 v13, v68 offset:6528                          // 000000007420: D81A1980 0000440D
	ds_write_b32 v13, v69 offset:7584                          // 000000007428: D81A1DA0 0000450D
	v_mfma_f32_16x16x16_bf16 v[196:199], v[122:123], v[156:157], v[196:199]// 000000007430: D3E100C4 0713397A
	ds_write_b32 v18, v56 offset:26112                         // 000000007438: D81A6600 00003812
	ds_write_b32 v18, v57 offset:26656                         // 000000007440: D81A6820 00003912
	v_mfma_f32_16x16x16_bf16 v[200:203], v[124:125], v[156:157], v[200:203]// 000000007448: D3E100C8 0723397C
	ds_write_b32 v13, v70 offset:8704                          // 000000007450: D81A2200 0000460D
	ds_write_b32 v13, v71 offset:9760                          // 000000007458: D81A2620 0000470D
	v_mfma_f32_16x16x16_bf16 v[204:207], v[126:127], v[156:157], v[204:207]// 000000007460: D3E100CC 0733397E
	ds_write_b32 v13, v72 offset:10880                         // 000000007468: D81A2A80 0000480D
	ds_write_b32 v13, v73 offset:11936                         // 000000007470: D81A2EA0 0000490D
	s_barrier                                                  // 000000007478: BF8A0000
	v_mfma_f32_16x16x16_bf16 a[96:99], a[72:73], v[64:65], a[96:99]// 00000000747C: D3E18060 0D828148
	ds_read_b32 v128, v21 offset:40704                         // 000000007484: D86C9F00 80000015
	ds_read_b32 v158, v21 offset:40960                         // 00000000748C: D86CA000 9E000015
	v_mfma_f32_16x16x16_bf16 a[100:103], a[74:75], v[64:65], a[100:103]// 000000007494: D3E18064 0D92814A
	buffer_atomic_add_f32 v150, v7, s[32:35], 0 offen offset:384// 00000000749C: E1341180 80089607
	buffer_atomic_add_f32 v151, v8, s[32:35], 0 offen offset:384// 0000000074A4: E1341180 80089708
	v_mfma_f32_16x16x16_bf16 a[104:107], a[76:77], v[64:65], a[104:107]// 0000000074AC: D3E18068 0DA2814C
	s_waitcnt lgkmcnt(6)                                       // 0000000074B4: BF8CC67F
	s_barrier                                                  // 0000000074B8: BF8A0000
	v_mfma_f32_16x16x16_bf16 a[108:111], a[78:79], v[64:65], a[108:111]// 0000000074BC: D3E1806C 0DB2814E
	s_mov_b64 exec, s[94:95]                                   // 0000000074C4: BEFE015E
	buffer_atomic_add_f32 v152, v7, s[32:35], 0 offen offset:512// 0000000074C8: E1341200 80089807
	s_mov_b32 exec_lo, -1                                      // 0000000074D0: BEFE00C1
	s_mov_b32 exec_hi, -1                                      // 0000000074D4: BEFF00C1
	v_mfma_f32_16x16x16_bf16 a[112:115], a[80:81], v[64:65], a[112:115]// 0000000074D8: D3E18070 0DC28150
	ds_read_b128 v[56:59], v17 offset:26112                    // 0000000074E0: D9FE6600 38000011
	v_mfma_f32_16x16x16_bf16 a[116:119], a[82:83], v[64:65], a[116:119]// 0000000074E8: D3E18074 0DD28152
	s_mov_b64 exec, s[94:95]                                   // 0000000074F0: BEFE015E
	buffer_atomic_add_f32 v153, v8, s[32:35], 0 offen offset:512// 0000000074F4: E1341200 80089908
	s_mov_b32 exec_lo, -1                                      // 0000000074FC: BEFE00C1
	s_mov_b32 exec_hi, -1                                      // 000000007500: BEFF00C1
	v_mfma_f32_16x16x16_bf16 a[120:123], a[84:85], v[64:65], a[120:123]// 000000007504: D3E18078 0DE28154
	ds_read_b128 v[60:63], v17 offset:27264                    // 00000000750C: D9FE6A80 3C000011
	v_mfma_f32_16x16x16_bf16 a[124:127], a[86:87], v[64:65], a[124:127]// 000000007514: D3E1807C 0DF28156
	s_mov_b64 exec, s[96:97]                                   // 00000000751C: BEFE0160
	buffer_atomic_add_f32 v154, v7, s[32:35], 0 offen offset:640// 000000007520: E1341280 80089A07
	s_mov_b32 exec_lo, -1                                      // 000000007528: BEFE00C1
	s_mov_b32 exec_hi, -1                                      // 00000000752C: BEFF00C1
	v_mfma_f32_16x16x16_bf16 a[128:131], a[88:89], v[64:65], a[128:131]// 000000007530: D3E18080 0E028158
	ds_write_b32 v13, v74 offset:19584                         // 000000007538: D81A4C80 00004A0D
	ds_write_b32 v13, v75 offset:20640                         // 000000007540: D81A50A0 00004B0D
	v_mfma_f32_16x16x16_bf16 a[132:135], a[90:91], v[64:65], a[132:135]// 000000007548: D3E18084 0E12815A
	s_mov_b64 exec, s[96:97]                                   // 000000007550: BEFE0160
	buffer_atomic_add_f32 v155, v8, s[32:35], 0 offen offset:640// 000000007554: E1341280 80089B08
	s_mov_b32 exec_lo, -1                                      // 00000000755C: BEFE00C1
	s_mov_b32 exec_hi, -1                                      // 000000007560: BEFF00C1
	v_mfma_f32_16x16x16_bf16 a[136:139], a[92:93], v[64:65], a[136:139]// 000000007564: D3E18088 0E22815C
	ds_write_b32 v13, v76 offset:21760                         // 00000000756C: D81A5500 00004C0D
	ds_write_b32 v13, v77 offset:22816                         // 000000007574: D81A5920 00004D0D
	v_mfma_f32_16x16x16_bf16 a[140:143], a[94:95], v[64:65], a[140:143]// 00000000757C: D3E1808C 0E32815E
	ds_write_b32 v13, v78 offset:23936                         // 000000007584: D81A5D80 00004E0D
	ds_write_b32 v13, v79 offset:24992                         // 00000000758C: D81A61A0 00004F0D
	s_waitcnt vmcnt(12) lgkmcnt(6)                             // 000000007594: BF8C067C
	s_barrier                                                  // 000000007598: BF8A0000
	v_mfma_f32_16x16x16_bf16 v[132:135], v[56:57], a[24:25], 0 // 00000000759C: D3E10084 12023138
	ds_read_b128 a[72:75], v10                                 // 0000000075A4: DBFE0000 4800000A
	ds_read_b128 a[76:79], v10 offset:512                      // 0000000075AC: DBFE0200 4C00000A
	ds_read_b128 a[80:83], v10 offset:2176                     // 0000000075B4: DBFE0880 5000000A
	buffer_load_dword v32, v1, s[8:11], 0 idxen                // 0000000075BC: E0502000 80022001
	buffer_load_dword v33, v2, s[8:11], 0 idxen                // 0000000075C4: E0502000 80022102
	v_mfma_f32_16x16x16_bf16 v[132:135], v[58:59], a[30:31], v[132:135]// 0000000075CC: D3E10084 16123D3A
	v_mul_f32_e32 v128, s48, v128                              // 0000000075D4: 0B010030
	v_perm_b32 v68, v39, v38, s63                              // 0000000075D8: D1ED0044 00FE4D27
	v_perm_b32 v69, v39, v38, s64                              // 0000000075E0: D1ED0045 01024D27
	v_perm_b32 v70, v41, v40, s63                              // 0000000075E8: D1ED0046 00FE5129
	v_mfma_f32_16x16x16_bf16 v[132:135], v[60:61], a[36:37], v[132:135]// 0000000075F0: D3E10084 1612493C
	ds_read_b128 a[84:87], v10 offset:2688                     // 0000000075F8: DBFE0A80 5400000A
	ds_read_b128 a[88:91], v10 offset:4352                     // 000000007600: DBFE1100 5800000A
	ds_read_b128 a[92:95], v10 offset:4864                     // 000000007608: DBFE1300 5C00000A
	buffer_load_dword v34, v1, s[8:11], 0 idxen offset:128     // 000000007610: E0502080 80022201
	buffer_load_dword v35, v2, s[8:11], 0 idxen offset:128     // 000000007618: E0502080 80022302
	v_mfma_f32_16x16x16_bf16 v[132:135], v[62:63], a[42:43], v[132:135]// 000000007620: D3E10084 1612553E
	v_perm_b32 v71, v41, v40, s64                              // 000000007628: D1ED0047 01025129
	v_perm_b32 v72, v43, v42, s63                              // 000000007630: D1ED0048 00FE552B
	v_perm_b32 v73, v43, v42, s64                              // 000000007638: D1ED0049 0102552B
	v_mfma_f32_16x16x16_bf16 v[136:139], v[56:57], a[26:27], 0 // 000000007640: D3E10088 12023538
	ds_read_b128 v[80:83], v10 offset:13056                    // 000000007648: D9FE3300 5000000A
	ds_read_b128 v[84:87], v10 offset:13568                    // 000000007650: D9FE3500 5400000A
	ds_read_b128 v[88:91], v10 offset:15232                    // 000000007658: D9FE3B80 5800000A
	buffer_load_dword v44, v212, s[20:23], 0 idxen             // 000000007660: E0502000 80052CD4
	buffer_load_dword v45, v213, s[20:23], 0 idxen             // 000000007668: E0502000 80052DD5
	v_mfma_f32_16x16x16_bf16 v[136:139], v[58:59], a[32:33], v[136:139]// 000000007670: D3E10088 1622413A
	v_perm_b32 v74, v51, v50, s63                              // 000000007678: D1ED004A 00FE6533
	v_perm_b32 v75, v51, v50, s64                              // 000000007680: D1ED004B 01026533
	v_perm_b32 v76, v53, v52, s63                              // 000000007688: D1ED004C 00FE6935
	v_mov_b32_dpp v131, v128 quad_perm:[3,3,3,3] row_mask:0xf bank_mask:0xf// 000000007690: 7F0602FA FF00FF80
	v_mov_b32_dpp v130, v128 quad_perm:[2,2,2,2] row_mask:0xf bank_mask:0xf// 000000007698: 7F0402FA FF00AA80
	v_mfma_f32_16x16x16_bf16 v[136:139], v[60:61], a[38:39], v[136:139]// 0000000076A0: D3E10088 16224D3C
	ds_read_b128 v[92:95], v10 offset:15744                    // 0000000076A8: D9FE3D80 5C00000A
	ds_read_b128 v[96:99], v10 offset:17408                    // 0000000076B0: D9FE4400 6000000A
	ds_read_b128 v[100:103], v10 offset:17920                  // 0000000076B8: D9FE4600 6400000A
	buffer_load_dword v46, v212, s[20:23], 0 idxen offset:128  // 0000000076C0: E0502080 80052ED4
	buffer_load_dword v47, v213, s[20:23], 0 idxen offset:128  // 0000000076C8: E0502080 80052FD5
	v_mfma_f32_16x16x16_bf16 v[136:139], v[62:63], a[44:45], v[136:139]// 0000000076D0: D3E10088 1622593E
	v_perm_b32 v77, v53, v52, s64                              // 0000000076D8: D1ED004D 01026935
	v_perm_b32 v78, v55, v54, s63                              // 0000000076E0: D1ED004E 00FE6D37
	v_perm_b32 v79, v55, v54, s64                              // 0000000076E8: D1ED004F 01026D37
	v_mov_b32_dpp v129, v128 quad_perm:[1,1,1,1] row_mask:0xf bank_mask:0xf// 0000000076F0: 7F0202FA FF005580
	v_mov_b32_dpp v128, v128 quad_perm:[0,0,0,0] row_mask:0xf bank_mask:0xf// 0000000076F8: 7F0002FA FF000080
	v_mfma_f32_16x16x16_bf16 v[140:143], v[56:57], a[28:29], 0 // 000000007700: D3E1008C 12023938
	buffer_load_dword v9, s[24:27], 0 idxen lds                // 000000007708: E0512000 80060009
	v_mov_b32_e32 v36, 0                                       // 000000007710: 7E480280
	s_mov_b64 exec, s[90:91]                                   // 000000007714: BEFE015A
	buffer_load_dword v36, v1, s[8:11], 0 idxen offset:256     // 000000007718: E0502100 80022401
	s_mov_b32 exec_lo, -1                                      // 000000007720: BEFE00C1
	s_mov_b32 exec_hi, -1                                      // 000000007724: BEFF00C1
	v_mov_b32_e32 v37, 0                                       // 000000007728: 7E4A0280
	s_mov_b64 exec, s[90:91]                                   // 00000000772C: BEFE015A
	buffer_load_dword v37, v2, s[8:11], 0 idxen offset:256     // 000000007730: E0502100 80022502
	s_mov_b32 exec_lo, -1                                      // 000000007738: BEFE00C1
	s_mov_b32 exec_hi, -1                                      // 00000000773C: BEFF00C1
	v_mfma_f32_16x16x16_bf16 v[140:143], v[58:59], a[34:35], v[140:143]// 000000007740: D3E1008C 1632453A
	s_add_u32 s60, 64, s59                                     // 000000007748: 803C3BC0
	s_cmp_lt_u32 s60, s58                                      // 00000000774C: BF0A3A3C
	s_cselect_b32 s68, s68, 0                                  // 000000007750: 85448044
	s_cselect_b32 s99, s99, 0                                  // 000000007754: 85638063
	;; [unrolled: 1-line block ×3, first 2 shown]
	v_mfma_f32_16x16x16_bf16 v[140:143], v[60:61], a[40:41], v[140:143]// 00000000775C: D3E1008C 1632513C
	v_mov_b32_e32 v48, 0                                       // 000000007764: 7E600280
	s_mov_b64 exec, s[90:91]                                   // 000000007768: BEFE015A
	buffer_load_dword v48, v212, s[20:23], 0 idxen offset:256  // 00000000776C: E0502100 800530D4
	s_mov_b32 exec_lo, -1                                      // 000000007774: BEFE00C1
	s_mov_b32 exec_hi, -1                                      // 000000007778: BEFF00C1
	v_mov_b32_e32 v49, 0                                       // 00000000777C: 7E620280
	s_mov_b64 exec, s[90:91]                                   // 000000007780: BEFE015A
	buffer_load_dword v49, v213, s[20:23], 0 idxen offset:256  // 000000007784: E0502100 800531D5
	s_mov_b32 exec_lo, -1                                      // 00000000778C: BEFE00C1
	s_mov_b32 exec_hi, -1                                      // 000000007790: BEFF00C1
	v_add_u32_e32 v1, s68, v1                                  // 000000007794: 68020244
	v_add_u32_e32 v2, s68, v2                                  // 000000007798: 68040444
	v_add_u32_e32 v212, s99, v212                              // 00000000779C: 69A9A863
	v_add_u32_e32 v213, s99, v213                              // 0000000077A0: 69ABAA63
	s_mov_b32 m0, s81                                          // 0000000077A4: BEFC0051
	v_add_u32_e32 v9, s69, v9                                  // 0000000077A8: 68121245
	v_mfma_f32_16x16x16_bf16 v[140:143], v[62:63], a[46:47], v[140:143]// 0000000077AC: D3E1008C 16325D3E
	s_cmp_ge_u32 s59, s73                                      // 0000000077B4: BF09493B
	s_cselect_b32 s66, s67, s66                                // 0000000077B8: 85424243
	s_addk_i32 s59, 0x10                                       // 0000000077BC: B73B0010
	s_nop 0                                                    // 0000000077C0: BF800000
	s_cmp_lt_i32 s59, s58                                      // 0000000077C4: BF043A3B
	s_cbranch_scc0 label_0A24                                  // 0000000077C8: BF84FC31
	s_branch label_0A27                                        // 0000000077CC: BF82FC33

00000000000077d0 <label_0DF4>:
	v_add_u32_e32 v7, s66, v7                                  // 0000000077D0: 680E0E42
	v_add_u32_e32 v8, s66, v8                                  // 0000000077D4: 68101042
	v_lshrrev_b32_e32 v28, 5, v0                               // 0000000077D8: 20380085
	v_mul_i32_i24_e32 v25, 0x44, v28                           // 0000000077DC: 0C3238FF 00000044
	v_and_b32_e32 v28, 31, v0                                  // 0000000077E4: 2638009F
	v_mul_i32_i24_e32 v29, 2, v28                              // 0000000077E8: 0C3A3882
	v_add_u32_e32 v25, v29, v25                                // 0000000077EC: 6832331D
	s_mul_i32 s60, s46, 0x660                                  // 0000000077F0: 923CFF2E 00000660
	v_add_u32_e32 v25, s60, v25                                // 0000000077F8: 6832323C
	v_lshlrev_b32_e32 v25, 2, v25                              // 0000000077FC: 24323282
	v_mul_f32_e32 v132, s47, v132                              // 000000007800: 0B09082F
	v_mul_f32_e32 v133, s47, v133                              // 000000007804: 0B0B0A2F
	v_mul_f32_e32 v134, s47, v134                              // 000000007808: 0B0D0C2F
	v_mul_f32_e32 v135, s47, v135                              // 00000000780C: 0B0F0E2F
	v_mul_f32_e32 v136, s47, v136                              // 000000007810: 0B11102F
	v_mul_f32_e32 v137, s47, v137                              // 000000007814: 0B13122F
	v_mul_f32_e32 v138, s47, v138                              // 000000007818: 0B15142F
	v_mul_f32_e32 v139, s47, v139                              // 00000000781C: 0B17162F
	v_mul_f32_e32 v140, s47, v140                              // 000000007820: 0B19182F
	v_mul_f32_e32 v141, s47, v141                              // 000000007824: 0B1B1A2F
	v_mul_f32_e32 v142, s47, v142                              // 000000007828: 0B1D1C2F
	v_mul_f32_e32 v143, s47, v143                              // 00000000782C: 0B1F1E2F
	ds_write_b64 v20, v[132:133] offset:28416                  // 000000007830: D89A6F00 00008414
	ds_write_b64 v20, v[134:135] offset:28928                  // 000000007838: D89A7100 00008614
	ds_write_b64 v20, v[136:137] offset:29440                  // 000000007840: D89A7300 00008814
	ds_write_b64 v20, v[138:139] offset:29952                  // 000000007848: D89A7500 00008A14
	ds_write_b64 v20, v[140:141] offset:30464                  // 000000007850: D89A7700 00008C14
	ds_write_b64 v20, v[142:143] offset:30976                  // 000000007858: D89A7900 00008E14
	s_waitcnt lgkmcnt(0)                                       // 000000007860: BF8CC07F
	s_barrier                                                  // 000000007864: BF8A0000
	ds_read_b64 v[144:145], v19 offset:28416                   // 000000007868: D8EC6F00 90000013
	ds_read_b64 v[146:147], v19 offset:30464                   // 000000007870: D8EC7700 92000013
	ds_read_b64 v[148:149], v19 offset:32512                   // 000000007878: D8EC7F00 94000013
	ds_read_b64 v[150:151], v19 offset:34560                   // 000000007880: D8EC8700 96000013
	ds_read_b64 v[152:153], v19 offset:36608                   // 000000007888: D8EC8F00 98000013
	ds_read_b64 v[154:155], v19 offset:38656                   // 000000007890: D8EC9700 9A000013
	s_waitcnt lgkmcnt(0)                                       // 000000007898: BF8CC07F
	s_barrier                                                  // 00000000789C: BF8A0000
	buffer_atomic_add_f32 v144, v7, s[32:35], 0 offen          // 0000000078A0: E1341000 80089007
	buffer_atomic_add_f32 v145, v8, s[32:35], 0 offen          // 0000000078A8: E1341000 80089108
	buffer_atomic_add_f32 v146, v7, s[32:35], 0 offen offset:128// 0000000078B0: E1341080 80089207
	buffer_atomic_add_f32 v147, v8, s[32:35], 0 offen offset:128// 0000000078B8: E1341080 80089308
	buffer_atomic_add_f32 v148, v7, s[32:35], 0 offen offset:256// 0000000078C0: E1341100 80089407
	buffer_atomic_add_f32 v149, v8, s[32:35], 0 offen offset:256// 0000000078C8: E1341100 80089508
	buffer_atomic_add_f32 v150, v7, s[32:35], 0 offen offset:384// 0000000078D0: E1341180 80089607
	buffer_atomic_add_f32 v151, v8, s[32:35], 0 offen offset:384// 0000000078D8: E1341180 80089708
	s_mov_b64 exec, s[94:95]                                   // 0000000078E0: BEFE015E
	buffer_atomic_add_f32 v152, v7, s[32:35], 0 offen offset:512// 0000000078E4: E1341200 80089807
	s_mov_b32 exec_lo, -1                                      // 0000000078EC: BEFE00C1
	s_mov_b32 exec_hi, -1                                      // 0000000078F0: BEFF00C1
	s_mov_b64 exec, s[94:95]                                   // 0000000078F4: BEFE015E
	buffer_atomic_add_f32 v153, v8, s[32:35], 0 offen offset:512// 0000000078F8: E1341200 80089908
	s_mov_b32 exec_lo, -1                                      // 000000007900: BEFE00C1
	s_mov_b32 exec_hi, -1                                      // 000000007904: BEFF00C1
	s_mov_b64 exec, s[96:97]                                   // 000000007908: BEFE0160
	buffer_atomic_add_f32 v154, v7, s[32:35], 0 offen offset:640// 00000000790C: E1341280 80089A07
	s_mov_b32 exec_lo, -1                                      // 000000007914: BEFE00C1
	s_mov_b32 exec_hi, -1                                      // 000000007918: BEFF00C1
	s_mov_b64 exec, s[96:97]                                   // 00000000791C: BEFE0160
	buffer_atomic_add_f32 v155, v8, s[32:35], 0 offen offset:640// 000000007920: E1341280 80089B08
	s_mov_b32 exec_lo, -1                                      // 000000007928: BEFE00C1
	s_mov_b32 exec_hi, -1                                      // 00000000792C: BEFF00C1
	v_lshrrev_b32_e32 v28, 3, v0                               // 000000007930: 20380083
	v_mul_i32_i24_e32 v24, 2, v28                              // 000000007934: 0C303882
	v_and_b32_e32 v28, 7, v0                                   // 000000007938: 26380087
	v_mul_i32_i24_e32 v29, 0x44, v28                           // 00000000793C: 0C3A38FF 00000044
	v_add_u32_e32 v24, v29, v24                                // 000000007944: 6830311D
	s_mul_i32 s60, s46, 0x660                                  // 000000007948: 923CFF2E 00000660
	v_add_u32_e32 v24, s60, v24                                // 000000007950: 6830303C
	v_lshlrev_b32_e32 v24, 2, v24                              // 000000007954: 24303082
	v_and_b32_e32 v28, 7, v0                                   // 000000007958: 26380087
	v_mov_b32_e32 v29, s98                                     // 00000000795C: 7E3A0262
	v_mov_b32_e32 v30, 0x80                                    // 000000007960: 7E3C02FF 00000080
	v_sub_u32_e32 v29, v29, v30                                // 000000007968: 6A3A3D1D
	v_lshrrev_b32_e32 v29, 3, v29                              // 00000000796C: 203A3A83
	v_cmp_lt_u32_e64 s[92:93], v28, v29                        // 000000007970: D0C9005C 00023B1C
	v_accvgpr_read_b32 v30, a96                                // 000000007978: D3D8401E 18000160
	v_accvgpr_read_b32 v31, a97                                // 000000007980: D3D8401F 18000161
	v_mul_f32_e32 v30, s47, v30                                // 000000007988: 0A3C3C2F
	v_mul_f32_e32 v31, s47, v31                                // 00000000798C: 0A3E3E2F
	v_cmp_u_f32_e64 s[78:79], v30, v30                         // 000000007990: D048004E 00023D1E
	v_bfe_u32 v208, v30, 16, 1                                 // 000000007998: D1C800D0 0205211E
	v_add3_u32 v208, v30, v208, v211                           // 0000000079A0: D1FF00D0 074FA11E
	v_cndmask_b32_e64 v28, v208, v210, s[78:79]                // 0000000079A8: D100001C 013BA5D0
	v_lshrrev_b32_e32 v28, 16, v28                             // 0000000079B0: 20383890
	v_cmp_u_f32_e64 s[78:79], v31, v31                         // 0000000079B4: D048004E 00023F1F
	v_bfe_u32 v208, v31, 16, 1                                 // 0000000079BC: D1C800D0 0205211F
	v_add3_u32 v208, v31, v208, v211                           // 0000000079C4: D1FF00D0 074FA11F
	v_cndmask_b32_e64 v29, v208, v210, s[78:79]                // 0000000079CC: D100001D 013BA5D0
	v_and_or_b32 v56, v29, v209, v28                           // 0000000079D4: D2010038 0473A31D
	v_accvgpr_read_b32 v30, a98                                // 0000000079DC: D3D8401E 18000162
	v_accvgpr_read_b32 v31, a99                                // 0000000079E4: D3D8401F 18000163
	v_mul_f32_e32 v30, s47, v30                                // 0000000079EC: 0A3C3C2F
	v_mul_f32_e32 v31, s47, v31                                // 0000000079F0: 0A3E3E2F
	v_cmp_u_f32_e64 s[78:79], v30, v30                         // 0000000079F4: D048004E 00023D1E
	v_bfe_u32 v208, v30, 16, 1                                 // 0000000079FC: D1C800D0 0205211E
	v_add3_u32 v208, v30, v208, v211                           // 000000007A04: D1FF00D0 074FA11E
	v_cndmask_b32_e64 v28, v208, v210, s[78:79]                // 000000007A0C: D100001C 013BA5D0
	v_lshrrev_b32_e32 v28, 16, v28                             // 000000007A14: 20383890
	v_cmp_u_f32_e64 s[78:79], v31, v31                         // 000000007A18: D048004E 00023F1F
	v_bfe_u32 v208, v31, 16, 1                                 // 000000007A20: D1C800D0 0205211F
	v_add3_u32 v208, v31, v208, v211                           // 000000007A28: D1FF00D0 074FA11F
	v_cndmask_b32_e64 v29, v208, v210, s[78:79]                // 000000007A30: D100001D 013BA5D0
	v_and_or_b32 v57, v29, v209, v28                           // 000000007A38: D2010039 0473A31D
	v_accvgpr_read_b32 v30, a100                               // 000000007A40: D3D8401E 18000164
	v_accvgpr_read_b32 v31, a101                               // 000000007A48: D3D8401F 18000165
	v_mul_f32_e32 v30, s47, v30                                // 000000007A50: 0A3C3C2F
	v_mul_f32_e32 v31, s47, v31                                // 000000007A54: 0A3E3E2F
	v_cmp_u_f32_e64 s[78:79], v30, v30                         // 000000007A58: D048004E 00023D1E
	v_bfe_u32 v208, v30, 16, 1                                 // 000000007A60: D1C800D0 0205211E
	v_add3_u32 v208, v30, v208, v211                           // 000000007A68: D1FF00D0 074FA11E
	v_cndmask_b32_e64 v28, v208, v210, s[78:79]                // 000000007A70: D100001C 013BA5D0
	v_lshrrev_b32_e32 v28, 16, v28                             // 000000007A78: 20383890
	v_cmp_u_f32_e64 s[78:79], v31, v31                         // 000000007A7C: D048004E 00023F1F
	v_bfe_u32 v208, v31, 16, 1                                 // 000000007A84: D1C800D0 0205211F
	v_add3_u32 v208, v31, v208, v211                           // 000000007A8C: D1FF00D0 074FA11F
	v_cndmask_b32_e64 v29, v208, v210, s[78:79]                // 000000007A94: D100001D 013BA5D0
	v_and_or_b32 v58, v29, v209, v28                           // 000000007A9C: D201003A 0473A31D
	v_accvgpr_read_b32 v30, a102                               // 000000007AA4: D3D8401E 18000166
	v_accvgpr_read_b32 v31, a103                               // 000000007AAC: D3D8401F 18000167
	v_mul_f32_e32 v30, s47, v30                                // 000000007AB4: 0A3C3C2F
	v_mul_f32_e32 v31, s47, v31                                // 000000007AB8: 0A3E3E2F
	v_cmp_u_f32_e64 s[78:79], v30, v30                         // 000000007ABC: D048004E 00023D1E
	v_bfe_u32 v208, v30, 16, 1                                 // 000000007AC4: D1C800D0 0205211E
	v_add3_u32 v208, v30, v208, v211                           // 000000007ACC: D1FF00D0 074FA11E
	v_cndmask_b32_e64 v28, v208, v210, s[78:79]                // 000000007AD4: D100001C 013BA5D0
	v_lshrrev_b32_e32 v28, 16, v28                             // 000000007ADC: 20383890
	v_cmp_u_f32_e64 s[78:79], v31, v31                         // 000000007AE0: D048004E 00023F1F
	v_bfe_u32 v208, v31, 16, 1                                 // 000000007AE8: D1C800D0 0205211F
	v_add3_u32 v208, v31, v208, v211                           // 000000007AF0: D1FF00D0 074FA11F
	v_cndmask_b32_e64 v29, v208, v210, s[78:79]                // 000000007AF8: D100001D 013BA5D0
	v_and_or_b32 v59, v29, v209, v28                           // 000000007B00: D201003B 0473A31D
	v_accvgpr_read_b32 v30, a104                               // 000000007B08: D3D8401E 18000168
	v_accvgpr_read_b32 v31, a105                               // 000000007B10: D3D8401F 18000169
	v_mul_f32_e32 v30, s47, v30                                // 000000007B18: 0A3C3C2F
	v_mul_f32_e32 v31, s47, v31                                // 000000007B1C: 0A3E3E2F
	v_cmp_u_f32_e64 s[78:79], v30, v30                         // 000000007B20: D048004E 00023D1E
	v_bfe_u32 v208, v30, 16, 1                                 // 000000007B28: D1C800D0 0205211E
	v_add3_u32 v208, v30, v208, v211                           // 000000007B30: D1FF00D0 074FA11E
	v_cndmask_b32_e64 v28, v208, v210, s[78:79]                // 000000007B38: D100001C 013BA5D0
	v_lshrrev_b32_e32 v28, 16, v28                             // 000000007B40: 20383890
	v_cmp_u_f32_e64 s[78:79], v31, v31                         // 000000007B44: D048004E 00023F1F
	v_bfe_u32 v208, v31, 16, 1                                 // 000000007B4C: D1C800D0 0205211F
	v_add3_u32 v208, v31, v208, v211                           // 000000007B54: D1FF00D0 074FA11F
	v_cndmask_b32_e64 v29, v208, v210, s[78:79]                // 000000007B5C: D100001D 013BA5D0
	v_and_or_b32 v60, v29, v209, v28                           // 000000007B64: D201003C 0473A31D
	v_accvgpr_read_b32 v30, a106                               // 000000007B6C: D3D8401E 1800016A
	v_accvgpr_read_b32 v31, a107                               // 000000007B74: D3D8401F 1800016B
	v_mul_f32_e32 v30, s47, v30                                // 000000007B7C: 0A3C3C2F
	v_mul_f32_e32 v31, s47, v31                                // 000000007B80: 0A3E3E2F
	v_cmp_u_f32_e64 s[78:79], v30, v30                         // 000000007B84: D048004E 00023D1E
	v_bfe_u32 v208, v30, 16, 1                                 // 000000007B8C: D1C800D0 0205211E
	v_add3_u32 v208, v30, v208, v211                           // 000000007B94: D1FF00D0 074FA11E
	v_cndmask_b32_e64 v28, v208, v210, s[78:79]                // 000000007B9C: D100001C 013BA5D0
	v_lshrrev_b32_e32 v28, 16, v28                             // 000000007BA4: 20383890
	v_cmp_u_f32_e64 s[78:79], v31, v31                         // 000000007BA8: D048004E 00023F1F
	v_bfe_u32 v208, v31, 16, 1                                 // 000000007BB0: D1C800D0 0205211F
	v_add3_u32 v208, v31, v208, v211                           // 000000007BB8: D1FF00D0 074FA11F
	v_cndmask_b32_e64 v29, v208, v210, s[78:79]                // 000000007BC0: D100001D 013BA5D0
	v_and_or_b32 v61, v29, v209, v28                           // 000000007BC8: D201003D 0473A31D
	v_accvgpr_read_b32 v30, a108                               // 000000007BD0: D3D8401E 1800016C
	v_accvgpr_read_b32 v31, a109                               // 000000007BD8: D3D8401F 1800016D
	v_mul_f32_e32 v30, s47, v30                                // 000000007BE0: 0A3C3C2F
	v_mul_f32_e32 v31, s47, v31                                // 000000007BE4: 0A3E3E2F
	v_cmp_u_f32_e64 s[78:79], v30, v30                         // 000000007BE8: D048004E 00023D1E
	v_bfe_u32 v208, v30, 16, 1                                 // 000000007BF0: D1C800D0 0205211E
	v_add3_u32 v208, v30, v208, v211                           // 000000007BF8: D1FF00D0 074FA11E
	v_cndmask_b32_e64 v28, v208, v210, s[78:79]                // 000000007C00: D100001C 013BA5D0
	v_lshrrev_b32_e32 v28, 16, v28                             // 000000007C08: 20383890
	v_cmp_u_f32_e64 s[78:79], v31, v31                         // 000000007C0C: D048004E 00023F1F
	v_bfe_u32 v208, v31, 16, 1                                 // 000000007C14: D1C800D0 0205211F
	v_add3_u32 v208, v31, v208, v211                           // 000000007C1C: D1FF00D0 074FA11F
	v_cndmask_b32_e64 v29, v208, v210, s[78:79]                // 000000007C24: D100001D 013BA5D0
	v_and_or_b32 v62, v29, v209, v28                           // 000000007C2C: D201003E 0473A31D
	v_accvgpr_read_b32 v30, a110                               // 000000007C34: D3D8401E 1800016E
	v_accvgpr_read_b32 v31, a111                               // 000000007C3C: D3D8401F 1800016F
	v_mul_f32_e32 v30, s47, v30                                // 000000007C44: 0A3C3C2F
	v_mul_f32_e32 v31, s47, v31                                // 000000007C48: 0A3E3E2F
	v_cmp_u_f32_e64 s[78:79], v30, v30                         // 000000007C4C: D048004E 00023D1E
	v_bfe_u32 v208, v30, 16, 1                                 // 000000007C54: D1C800D0 0205211E
	v_add3_u32 v208, v30, v208, v211                           // 000000007C5C: D1FF00D0 074FA11E
	v_cndmask_b32_e64 v28, v208, v210, s[78:79]                // 000000007C64: D100001C 013BA5D0
	v_lshrrev_b32_e32 v28, 16, v28                             // 000000007C6C: 20383890
	v_cmp_u_f32_e64 s[78:79], v31, v31                         // 000000007C70: D048004E 00023F1F
	v_bfe_u32 v208, v31, 16, 1                                 // 000000007C78: D1C800D0 0205211F
	v_add3_u32 v208, v31, v208, v211                           // 000000007C80: D1FF00D0 074FA11F
	v_cndmask_b32_e64 v29, v208, v210, s[78:79]                // 000000007C88: D100001D 013BA5D0
	v_and_or_b32 v63, v29, v209, v28                           // 000000007C90: D201003F 0473A31D
	v_accvgpr_read_b32 v30, a112                               // 000000007C98: D3D8401E 18000170
	v_accvgpr_read_b32 v31, a113                               // 000000007CA0: D3D8401F 18000171
	v_mul_f32_e32 v30, s47, v30                                // 000000007CA8: 0A3C3C2F
	v_mul_f32_e32 v31, s47, v31                                // 000000007CAC: 0A3E3E2F
	v_cmp_u_f32_e64 s[78:79], v30, v30                         // 000000007CB0: D048004E 00023D1E
	v_bfe_u32 v208, v30, 16, 1                                 // 000000007CB8: D1C800D0 0205211E
	v_add3_u32 v208, v30, v208, v211                           // 000000007CC0: D1FF00D0 074FA11E
	v_cndmask_b32_e64 v28, v208, v210, s[78:79]                // 000000007CC8: D100001C 013BA5D0
	v_lshrrev_b32_e32 v28, 16, v28                             // 000000007CD0: 20383890
	v_cmp_u_f32_e64 s[78:79], v31, v31                         // 000000007CD4: D048004E 00023F1F
	v_bfe_u32 v208, v31, 16, 1                                 // 000000007CDC: D1C800D0 0205211F
	v_add3_u32 v208, v31, v208, v211                           // 000000007CE4: D1FF00D0 074FA11F
	v_cndmask_b32_e64 v29, v208, v210, s[78:79]                // 000000007CEC: D100001D 013BA5D0
	v_and_or_b32 v64, v29, v209, v28                           // 000000007CF4: D2010040 0473A31D
	v_accvgpr_read_b32 v30, a114                               // 000000007CFC: D3D8401E 18000172
	v_accvgpr_read_b32 v31, a115                               // 000000007D04: D3D8401F 18000173
	v_mul_f32_e32 v30, s47, v30                                // 000000007D0C: 0A3C3C2F
	v_mul_f32_e32 v31, s47, v31                                // 000000007D10: 0A3E3E2F
	v_cmp_u_f32_e64 s[78:79], v30, v30                         // 000000007D14: D048004E 00023D1E
	v_bfe_u32 v208, v30, 16, 1                                 // 000000007D1C: D1C800D0 0205211E
	v_add3_u32 v208, v30, v208, v211                           // 000000007D24: D1FF00D0 074FA11E
	v_cndmask_b32_e64 v28, v208, v210, s[78:79]                // 000000007D2C: D100001C 013BA5D0
	v_lshrrev_b32_e32 v28, 16, v28                             // 000000007D34: 20383890
	v_cmp_u_f32_e64 s[78:79], v31, v31                         // 000000007D38: D048004E 00023F1F
	v_bfe_u32 v208, v31, 16, 1                                 // 000000007D40: D1C800D0 0205211F
	v_add3_u32 v208, v31, v208, v211                           // 000000007D48: D1FF00D0 074FA11F
	v_cndmask_b32_e64 v29, v208, v210, s[78:79]                // 000000007D50: D100001D 013BA5D0
	v_and_or_b32 v65, v29, v209, v28                           // 000000007D58: D2010041 0473A31D
	v_accvgpr_read_b32 v30, a116                               // 000000007D60: D3D8401E 18000174
	v_accvgpr_read_b32 v31, a117                               // 000000007D68: D3D8401F 18000175
	v_mul_f32_e32 v30, s47, v30                                // 000000007D70: 0A3C3C2F
	v_mul_f32_e32 v31, s47, v31                                // 000000007D74: 0A3E3E2F
	v_cmp_u_f32_e64 s[78:79], v30, v30                         // 000000007D78: D048004E 00023D1E
	v_bfe_u32 v208, v30, 16, 1                                 // 000000007D80: D1C800D0 0205211E
	v_add3_u32 v208, v30, v208, v211                           // 000000007D88: D1FF00D0 074FA11E
	v_cndmask_b32_e64 v28, v208, v210, s[78:79]                // 000000007D90: D100001C 013BA5D0
	v_lshrrev_b32_e32 v28, 16, v28                             // 000000007D98: 20383890
	v_cmp_u_f32_e64 s[78:79], v31, v31                         // 000000007D9C: D048004E 00023F1F
	v_bfe_u32 v208, v31, 16, 1                                 // 000000007DA4: D1C800D0 0205211F
	v_add3_u32 v208, v31, v208, v211                           // 000000007DAC: D1FF00D0 074FA11F
	v_cndmask_b32_e64 v29, v208, v210, s[78:79]                // 000000007DB4: D100001D 013BA5D0
	v_and_or_b32 v66, v29, v209, v28                           // 000000007DBC: D2010042 0473A31D
	v_accvgpr_read_b32 v30, a118                               // 000000007DC4: D3D8401E 18000176
	v_accvgpr_read_b32 v31, a119                               // 000000007DCC: D3D8401F 18000177
	v_mul_f32_e32 v30, s47, v30                                // 000000007DD4: 0A3C3C2F
	v_mul_f32_e32 v31, s47, v31                                // 000000007DD8: 0A3E3E2F
	v_cmp_u_f32_e64 s[78:79], v30, v30                         // 000000007DDC: D048004E 00023D1E
	v_bfe_u32 v208, v30, 16, 1                                 // 000000007DE4: D1C800D0 0205211E
	v_add3_u32 v208, v30, v208, v211                           // 000000007DEC: D1FF00D0 074FA11E
	v_cndmask_b32_e64 v28, v208, v210, s[78:79]                // 000000007DF4: D100001C 013BA5D0
	v_lshrrev_b32_e32 v28, 16, v28                             // 000000007DFC: 20383890
	v_cmp_u_f32_e64 s[78:79], v31, v31                         // 000000007E00: D048004E 00023F1F
	v_bfe_u32 v208, v31, 16, 1                                 // 000000007E08: D1C800D0 0205211F
	v_add3_u32 v208, v31, v208, v211                           // 000000007E10: D1FF00D0 074FA11F
	v_cndmask_b32_e64 v29, v208, v210, s[78:79]                // 000000007E18: D100001D 013BA5D0
	v_and_or_b32 v67, v29, v209, v28                           // 000000007E20: D2010043 0473A31D
	v_accvgpr_read_b32 v30, a120                               // 000000007E28: D3D8401E 18000178
	v_accvgpr_read_b32 v31, a121                               // 000000007E30: D3D8401F 18000179
	v_mul_f32_e32 v30, s47, v30                                // 000000007E38: 0A3C3C2F
	v_mul_f32_e32 v31, s47, v31                                // 000000007E3C: 0A3E3E2F
	v_cmp_u_f32_e64 s[78:79], v30, v30                         // 000000007E40: D048004E 00023D1E
	v_bfe_u32 v208, v30, 16, 1                                 // 000000007E48: D1C800D0 0205211E
	v_add3_u32 v208, v30, v208, v211                           // 000000007E50: D1FF00D0 074FA11E
	v_cndmask_b32_e64 v28, v208, v210, s[78:79]                // 000000007E58: D100001C 013BA5D0
	v_lshrrev_b32_e32 v28, 16, v28                             // 000000007E60: 20383890
	v_cmp_u_f32_e64 s[78:79], v31, v31                         // 000000007E64: D048004E 00023F1F
	v_bfe_u32 v208, v31, 16, 1                                 // 000000007E6C: D1C800D0 0205211F
	v_add3_u32 v208, v31, v208, v211                           // 000000007E74: D1FF00D0 074FA11F
	v_cndmask_b32_e64 v29, v208, v210, s[78:79]                // 000000007E7C: D100001D 013BA5D0
	v_and_or_b32 v68, v29, v209, v28                           // 000000007E84: D2010044 0473A31D
	v_accvgpr_read_b32 v30, a122                               // 000000007E8C: D3D8401E 1800017A
	v_accvgpr_read_b32 v31, a123                               // 000000007E94: D3D8401F 1800017B
	v_mul_f32_e32 v30, s47, v30                                // 000000007E9C: 0A3C3C2F
	v_mul_f32_e32 v31, s47, v31                                // 000000007EA0: 0A3E3E2F
	v_cmp_u_f32_e64 s[78:79], v30, v30                         // 000000007EA4: D048004E 00023D1E
	v_bfe_u32 v208, v30, 16, 1                                 // 000000007EAC: D1C800D0 0205211E
	v_add3_u32 v208, v30, v208, v211                           // 000000007EB4: D1FF00D0 074FA11E
	v_cndmask_b32_e64 v28, v208, v210, s[78:79]                // 000000007EBC: D100001C 013BA5D0
	v_lshrrev_b32_e32 v28, 16, v28                             // 000000007EC4: 20383890
	v_cmp_u_f32_e64 s[78:79], v31, v31                         // 000000007EC8: D048004E 00023F1F
	v_bfe_u32 v208, v31, 16, 1                                 // 000000007ED0: D1C800D0 0205211F
	v_add3_u32 v208, v31, v208, v211                           // 000000007ED8: D1FF00D0 074FA11F
	v_cndmask_b32_e64 v29, v208, v210, s[78:79]                // 000000007EE0: D100001D 013BA5D0
	v_and_or_b32 v69, v29, v209, v28                           // 000000007EE8: D2010045 0473A31D
	v_accvgpr_read_b32 v30, a124                               // 000000007EF0: D3D8401E 1800017C
	v_accvgpr_read_b32 v31, a125                               // 000000007EF8: D3D8401F 1800017D
	v_mul_f32_e32 v30, s47, v30                                // 000000007F00: 0A3C3C2F
	v_mul_f32_e32 v31, s47, v31                                // 000000007F04: 0A3E3E2F
	v_cmp_u_f32_e64 s[78:79], v30, v30                         // 000000007F08: D048004E 00023D1E
	v_bfe_u32 v208, v30, 16, 1                                 // 000000007F10: D1C800D0 0205211E
	v_add3_u32 v208, v30, v208, v211                           // 000000007F18: D1FF00D0 074FA11E
	v_cndmask_b32_e64 v28, v208, v210, s[78:79]                // 000000007F20: D100001C 013BA5D0
	v_lshrrev_b32_e32 v28, 16, v28                             // 000000007F28: 20383890
	v_cmp_u_f32_e64 s[78:79], v31, v31                         // 000000007F2C: D048004E 00023F1F
	v_bfe_u32 v208, v31, 16, 1                                 // 000000007F34: D1C800D0 0205211F
	v_add3_u32 v208, v31, v208, v211                           // 000000007F3C: D1FF00D0 074FA11F
	v_cndmask_b32_e64 v29, v208, v210, s[78:79]                // 000000007F44: D100001D 013BA5D0
	v_and_or_b32 v70, v29, v209, v28                           // 000000007F4C: D2010046 0473A31D
	v_accvgpr_read_b32 v30, a126                               // 000000007F54: D3D8401E 1800017E
	v_accvgpr_read_b32 v31, a127                               // 000000007F5C: D3D8401F 1800017F
	v_mul_f32_e32 v30, s47, v30                                // 000000007F64: 0A3C3C2F
	v_mul_f32_e32 v31, s47, v31                                // 000000007F68: 0A3E3E2F
	v_cmp_u_f32_e64 s[78:79], v30, v30                         // 000000007F6C: D048004E 00023D1E
	v_bfe_u32 v208, v30, 16, 1                                 // 000000007F74: D1C800D0 0205211E
	v_add3_u32 v208, v30, v208, v211                           // 000000007F7C: D1FF00D0 074FA11E
	v_cndmask_b32_e64 v28, v208, v210, s[78:79]                // 000000007F84: D100001C 013BA5D0
	v_lshrrev_b32_e32 v28, 16, v28                             // 000000007F8C: 20383890
	v_cmp_u_f32_e64 s[78:79], v31, v31                         // 000000007F90: D048004E 00023F1F
	v_bfe_u32 v208, v31, 16, 1                                 // 000000007F98: D1C800D0 0205211F
	v_add3_u32 v208, v31, v208, v211                           // 000000007FA0: D1FF00D0 074FA11F
	v_cndmask_b32_e64 v29, v208, v210, s[78:79]                // 000000007FA8: D100001D 013BA5D0
	v_and_or_b32 v71, v29, v209, v28                           // 000000007FB0: D2010047 0473A31D
	v_accvgpr_read_b32 v30, a128                               // 000000007FB8: D3D8401E 18000180
	v_accvgpr_read_b32 v31, a129                               // 000000007FC0: D3D8401F 18000181
	v_mul_f32_e32 v30, s47, v30                                // 000000007FC8: 0A3C3C2F
	v_mul_f32_e32 v31, s47, v31                                // 000000007FCC: 0A3E3E2F
	v_cmp_u_f32_e64 s[78:79], v30, v30                         // 000000007FD0: D048004E 00023D1E
	v_bfe_u32 v208, v30, 16, 1                                 // 000000007FD8: D1C800D0 0205211E
	v_add3_u32 v208, v30, v208, v211                           // 000000007FE0: D1FF00D0 074FA11E
	v_cndmask_b32_e64 v28, v208, v210, s[78:79]                // 000000007FE8: D100001C 013BA5D0
	v_lshrrev_b32_e32 v28, 16, v28                             // 000000007FF0: 20383890
	v_cmp_u_f32_e64 s[78:79], v31, v31                         // 000000007FF4: D048004E 00023F1F
	v_bfe_u32 v208, v31, 16, 1                                 // 000000007FFC: D1C800D0 0205211F
	v_add3_u32 v208, v31, v208, v211                           // 000000008004: D1FF00D0 074FA11F
	v_cndmask_b32_e64 v29, v208, v210, s[78:79]                // 00000000800C: D100001D 013BA5D0
	v_and_or_b32 v72, v29, v209, v28                           // 000000008014: D2010048 0473A31D
	v_accvgpr_read_b32 v30, a130                               // 00000000801C: D3D8401E 18000182
	v_accvgpr_read_b32 v31, a131                               // 000000008024: D3D8401F 18000183
	v_mul_f32_e32 v30, s47, v30                                // 00000000802C: 0A3C3C2F
	v_mul_f32_e32 v31, s47, v31                                // 000000008030: 0A3E3E2F
	v_cmp_u_f32_e64 s[78:79], v30, v30                         // 000000008034: D048004E 00023D1E
	v_bfe_u32 v208, v30, 16, 1                                 // 00000000803C: D1C800D0 0205211E
	v_add3_u32 v208, v30, v208, v211                           // 000000008044: D1FF00D0 074FA11E
	v_cndmask_b32_e64 v28, v208, v210, s[78:79]                // 00000000804C: D100001C 013BA5D0
	v_lshrrev_b32_e32 v28, 16, v28                             // 000000008054: 20383890
	v_cmp_u_f32_e64 s[78:79], v31, v31                         // 000000008058: D048004E 00023F1F
	v_bfe_u32 v208, v31, 16, 1                                 // 000000008060: D1C800D0 0205211F
	v_add3_u32 v208, v31, v208, v211                           // 000000008068: D1FF00D0 074FA11F
	v_cndmask_b32_e64 v29, v208, v210, s[78:79]                // 000000008070: D100001D 013BA5D0
	v_and_or_b32 v73, v29, v209, v28                           // 000000008078: D2010049 0473A31D
	v_accvgpr_read_b32 v30, a132                               // 000000008080: D3D8401E 18000184
	v_accvgpr_read_b32 v31, a133                               // 000000008088: D3D8401F 18000185
	v_mul_f32_e32 v30, s47, v30                                // 000000008090: 0A3C3C2F
	v_mul_f32_e32 v31, s47, v31                                // 000000008094: 0A3E3E2F
	v_cmp_u_f32_e64 s[78:79], v30, v30                         // 000000008098: D048004E 00023D1E
	v_bfe_u32 v208, v30, 16, 1                                 // 0000000080A0: D1C800D0 0205211E
	v_add3_u32 v208, v30, v208, v211                           // 0000000080A8: D1FF00D0 074FA11E
	v_cndmask_b32_e64 v28, v208, v210, s[78:79]                // 0000000080B0: D100001C 013BA5D0
	v_lshrrev_b32_e32 v28, 16, v28                             // 0000000080B8: 20383890
	v_cmp_u_f32_e64 s[78:79], v31, v31                         // 0000000080BC: D048004E 00023F1F
	v_bfe_u32 v208, v31, 16, 1                                 // 0000000080C4: D1C800D0 0205211F
	v_add3_u32 v208, v31, v208, v211                           // 0000000080CC: D1FF00D0 074FA11F
	v_cndmask_b32_e64 v29, v208, v210, s[78:79]                // 0000000080D4: D100001D 013BA5D0
	v_and_or_b32 v74, v29, v209, v28                           // 0000000080DC: D201004A 0473A31D
	v_accvgpr_read_b32 v30, a134                               // 0000000080E4: D3D8401E 18000186
	v_accvgpr_read_b32 v31, a135                               // 0000000080EC: D3D8401F 18000187
	v_mul_f32_e32 v30, s47, v30                                // 0000000080F4: 0A3C3C2F
	v_mul_f32_e32 v31, s47, v31                                // 0000000080F8: 0A3E3E2F
	v_cmp_u_f32_e64 s[78:79], v30, v30                         // 0000000080FC: D048004E 00023D1E
	v_bfe_u32 v208, v30, 16, 1                                 // 000000008104: D1C800D0 0205211E
	v_add3_u32 v208, v30, v208, v211                           // 00000000810C: D1FF00D0 074FA11E
	v_cndmask_b32_e64 v28, v208, v210, s[78:79]                // 000000008114: D100001C 013BA5D0
	v_lshrrev_b32_e32 v28, 16, v28                             // 00000000811C: 20383890
	v_cmp_u_f32_e64 s[78:79], v31, v31                         // 000000008120: D048004E 00023F1F
	v_bfe_u32 v208, v31, 16, 1                                 // 000000008128: D1C800D0 0205211F
	v_add3_u32 v208, v31, v208, v211                           // 000000008130: D1FF00D0 074FA11F
	v_cndmask_b32_e64 v29, v208, v210, s[78:79]                // 000000008138: D100001D 013BA5D0
	v_and_or_b32 v75, v29, v209, v28                           // 000000008140: D201004B 0473A31D
	v_accvgpr_read_b32 v30, a136                               // 000000008148: D3D8401E 18000188
	v_accvgpr_read_b32 v31, a137                               // 000000008150: D3D8401F 18000189
	v_mul_f32_e32 v30, s47, v30                                // 000000008158: 0A3C3C2F
	v_mul_f32_e32 v31, s47, v31                                // 00000000815C: 0A3E3E2F
	v_cmp_u_f32_e64 s[78:79], v30, v30                         // 000000008160: D048004E 00023D1E
	v_bfe_u32 v208, v30, 16, 1                                 // 000000008168: D1C800D0 0205211E
	v_add3_u32 v208, v30, v208, v211                           // 000000008170: D1FF00D0 074FA11E
	v_cndmask_b32_e64 v28, v208, v210, s[78:79]                // 000000008178: D100001C 013BA5D0
	v_lshrrev_b32_e32 v28, 16, v28                             // 000000008180: 20383890
	v_cmp_u_f32_e64 s[78:79], v31, v31                         // 000000008184: D048004E 00023F1F
	v_bfe_u32 v208, v31, 16, 1                                 // 00000000818C: D1C800D0 0205211F
	v_add3_u32 v208, v31, v208, v211                           // 000000008194: D1FF00D0 074FA11F
	v_cndmask_b32_e64 v29, v208, v210, s[78:79]                // 00000000819C: D100001D 013BA5D0
	v_and_or_b32 v76, v29, v209, v28                           // 0000000081A4: D201004C 0473A31D
	v_accvgpr_read_b32 v30, a138                               // 0000000081AC: D3D8401E 1800018A
	v_accvgpr_read_b32 v31, a139                               // 0000000081B4: D3D8401F 1800018B
	v_mul_f32_e32 v30, s47, v30                                // 0000000081BC: 0A3C3C2F
	v_mul_f32_e32 v31, s47, v31                                // 0000000081C0: 0A3E3E2F
	v_cmp_u_f32_e64 s[78:79], v30, v30                         // 0000000081C4: D048004E 00023D1E
	v_bfe_u32 v208, v30, 16, 1                                 // 0000000081CC: D1C800D0 0205211E
	v_add3_u32 v208, v30, v208, v211                           // 0000000081D4: D1FF00D0 074FA11E
	v_cndmask_b32_e64 v28, v208, v210, s[78:79]                // 0000000081DC: D100001C 013BA5D0
	v_lshrrev_b32_e32 v28, 16, v28                             // 0000000081E4: 20383890
	v_cmp_u_f32_e64 s[78:79], v31, v31                         // 0000000081E8: D048004E 00023F1F
	v_bfe_u32 v208, v31, 16, 1                                 // 0000000081F0: D1C800D0 0205211F
	v_add3_u32 v208, v31, v208, v211                           // 0000000081F8: D1FF00D0 074FA11F
	v_cndmask_b32_e64 v29, v208, v210, s[78:79]                // 000000008200: D100001D 013BA5D0
	v_and_or_b32 v77, v29, v209, v28                           // 000000008208: D201004D 0473A31D
	v_accvgpr_read_b32 v30, a140                               // 000000008210: D3D8401E 1800018C
	v_accvgpr_read_b32 v31, a141                               // 000000008218: D3D8401F 1800018D
	v_mul_f32_e32 v30, s47, v30                                // 000000008220: 0A3C3C2F
	v_mul_f32_e32 v31, s47, v31                                // 000000008224: 0A3E3E2F
	v_cmp_u_f32_e64 s[78:79], v30, v30                         // 000000008228: D048004E 00023D1E
	v_bfe_u32 v208, v30, 16, 1                                 // 000000008230: D1C800D0 0205211E
	v_add3_u32 v208, v30, v208, v211                           // 000000008238: D1FF00D0 074FA11E
	v_cndmask_b32_e64 v28, v208, v210, s[78:79]                // 000000008240: D100001C 013BA5D0
	v_lshrrev_b32_e32 v28, 16, v28                             // 000000008248: 20383890
	v_cmp_u_f32_e64 s[78:79], v31, v31                         // 00000000824C: D048004E 00023F1F
	v_bfe_u32 v208, v31, 16, 1                                 // 000000008254: D1C800D0 0205211F
	v_add3_u32 v208, v31, v208, v211                           // 00000000825C: D1FF00D0 074FA11F
	v_cndmask_b32_e64 v29, v208, v210, s[78:79]                // 000000008264: D100001D 013BA5D0
	v_and_or_b32 v78, v29, v209, v28                           // 00000000826C: D201004E 0473A31D
	v_accvgpr_read_b32 v30, a142                               // 000000008274: D3D8401E 1800018E
	v_accvgpr_read_b32 v31, a143                               // 00000000827C: D3D8401F 1800018F
	v_mul_f32_e32 v30, s47, v30                                // 000000008284: 0A3C3C2F
	v_mul_f32_e32 v31, s47, v31                                // 000000008288: 0A3E3E2F
	v_cmp_u_f32_e64 s[78:79], v30, v30                         // 00000000828C: D048004E 00023D1E
	v_bfe_u32 v208, v30, 16, 1                                 // 000000008294: D1C800D0 0205211E
	v_add3_u32 v208, v30, v208, v211                           // 00000000829C: D1FF00D0 074FA11E
	v_cndmask_b32_e64 v28, v208, v210, s[78:79]                // 0000000082A4: D100001C 013BA5D0
	v_lshrrev_b32_e32 v28, 16, v28                             // 0000000082AC: 20383890
	v_cmp_u_f32_e64 s[78:79], v31, v31                         // 0000000082B0: D048004E 00023F1F
	v_bfe_u32 v208, v31, 16, 1                                 // 0000000082B8: D1C800D0 0205211F
	v_add3_u32 v208, v31, v208, v211                           // 0000000082C0: D1FF00D0 074FA11F
	v_cndmask_b32_e64 v29, v208, v210, s[78:79]                // 0000000082C8: D100001D 013BA5D0
	v_and_or_b32 v79, v29, v209, v28                           // 0000000082D0: D201004F 0473A31D
	ds_write_b64 v25, v[56:57]                                 // 0000000082D8: D89A0000 00003819
	ds_write_b64 v25, v[58:59] offset:544                      // 0000000082E0: D89A0220 00003A19
	ds_write_b64 v25, v[60:61] offset:1088                     // 0000000082E8: D89A0440 00003C19
	ds_write_b64 v25, v[62:63] offset:1632                     // 0000000082F0: D89A0660 00003E19
	ds_write_b64 v25, v[64:65] offset:2176                     // 0000000082F8: D89A0880 00004019
	ds_write_b64 v25, v[66:67] offset:2720                     // 000000008300: D89A0AA0 00004219
	ds_write_b64 v25, v[68:69] offset:3264                     // 000000008308: D89A0CC0 00004419
	ds_write_b64 v25, v[70:71] offset:3808                     // 000000008310: D89A0EE0 00004619
	ds_write_b64 v25, v[72:73] offset:4352                     // 000000008318: D89A1100 00004819
	ds_write_b64 v25, v[74:75] offset:4896                     // 000000008320: D89A1320 00004A19
	ds_write_b64 v25, v[76:77] offset:5440                     // 000000008328: D89A1540 00004C19
	ds_write_b64 v25, v[78:79] offset:5984                     // 000000008330: D89A1760 00004E19
	s_waitcnt lgkmcnt(0)                                       // 000000008338: BF8CC07F
	s_barrier                                                  // 00000000833C: BF8A0000
	ds_read_b64 v[56:57], v24                                  // 000000008340: D8EC0000 38000018
	ds_read_b64 v[58:59], v24 offset:128                       // 000000008348: D8EC0080 3A000018
	ds_read_b64 v[60:61], v24 offset:64                        // 000000008350: D8EC0040 3C000018
	ds_read_b64 v[62:63], v24 offset:192                       // 000000008358: D8EC00C0 3E000018
	ds_read_b64 v[64:65], v24 offset:2176                      // 000000008360: D8EC0880 40000018
	ds_read_b64 v[66:67], v24 offset:2304                      // 000000008368: D8EC0900 42000018
	ds_read_b64 v[68:69], v24 offset:2240                      // 000000008370: D8EC08C0 44000018
	ds_read_b64 v[70:71], v24 offset:2368                      // 000000008378: D8EC0940 46000018
	ds_read_b64 v[72:73], v24 offset:4352                      // 000000008380: D8EC1100 48000018
	ds_read_b64 v[74:75], v24 offset:4480                      // 000000008388: D8EC1180 4A000018
	ds_read_b64 v[76:77], v24 offset:4416                      // 000000008390: D8EC1140 4C000018
	ds_read_b64 v[78:79], v24 offset:4544                      // 000000008398: D8EC11C0 4E000018
	s_waitcnt lgkmcnt(0)                                       // 0000000083A0: BF8CC07F
	buffer_store_dwordx4 v[56:59], v3, s[36:39], 0 idxen       // 0000000083A4: E07C2000 80093803
	v_add_u32_e32 v3, 32, v3                                   // 0000000083AC: 680606A0
	buffer_store_dwordx4 v[60:63], v4, s[36:39], 0 idxen       // 0000000083B0: E07C2000 80093C04
	v_add_u32_e32 v4, 32, v4                                   // 0000000083B8: 680808A0
	buffer_store_dwordx4 v[64:67], v3, s[36:39], 0 idxen       // 0000000083BC: E07C2000 80094003
	v_add_u32_e32 v3, 32, v3                                   // 0000000083C4: 680606A0
	buffer_store_dwordx4 v[68:71], v4, s[36:39], 0 idxen       // 0000000083C8: E07C2000 80094404
	v_add_u32_e32 v4, 32, v4                                   // 0000000083D0: 680808A0
	s_mov_b64 exec, s[92:93]                                   // 0000000083D4: BEFE015C
	buffer_store_dwordx4 v[72:75], v3, s[36:39], 0 idxen       // 0000000083D8: E07C2000 80094803
	s_mov_b32 exec_lo, -1                                      // 0000000083E0: BEFE00C1
	s_mov_b32 exec_hi, -1                                      // 0000000083E4: BEFF00C1
	v_add_u32_e32 v3, 32, v3                                   // 0000000083E8: 680606A0
	s_mov_b64 exec, s[92:93]                                   // 0000000083EC: BEFE015C
	buffer_store_dwordx4 v[76:79], v4, s[36:39], 0 idxen       // 0000000083F0: E07C2000 80094C04
	s_mov_b32 exec_lo, -1                                      // 0000000083F8: BEFE00C1
	s_mov_b32 exec_hi, -1                                      // 0000000083FC: BEFF00C1
	v_add_u32_e32 v4, 32, v4                                   // 000000008400: 680808A0
	s_barrier                                                  // 000000008404: BF8A0000
	v_mov_b32_e32 v30, v160                                    // 000000008408: 7E3C03A0
	v_mov_b32_e32 v31, v161                                    // 00000000840C: 7E3E03A1
	v_cmp_u_f32_e64 s[78:79], v30, v30                         // 000000008410: D048004E 00023D1E
	v_bfe_u32 v208, v30, 16, 1                                 // 000000008418: D1C800D0 0205211E
	v_add3_u32 v208, v30, v208, v211                           // 000000008420: D1FF00D0 074FA11E
	v_cndmask_b32_e64 v28, v208, v210, s[78:79]                // 000000008428: D100001C 013BA5D0
	v_lshrrev_b32_e32 v28, 16, v28                             // 000000008430: 20383890
	v_cmp_u_f32_e64 s[78:79], v31, v31                         // 000000008434: D048004E 00023F1F
	v_bfe_u32 v208, v31, 16, 1                                 // 00000000843C: D1C800D0 0205211F
	v_add3_u32 v208, v31, v208, v211                           // 000000008444: D1FF00D0 074FA11F
	v_cndmask_b32_e64 v29, v208, v210, s[78:79]                // 00000000844C: D100001D 013BA5D0
	v_and_or_b32 v160, v29, v209, v28                          // 000000008454: D20100A0 0473A31D
	v_mov_b32_e32 v30, v162                                    // 00000000845C: 7E3C03A2
	v_mov_b32_e32 v31, v163                                    // 000000008460: 7E3E03A3
	v_cmp_u_f32_e64 s[78:79], v30, v30                         // 000000008464: D048004E 00023D1E
	v_bfe_u32 v208, v30, 16, 1                                 // 00000000846C: D1C800D0 0205211E
	v_add3_u32 v208, v30, v208, v211                           // 000000008474: D1FF00D0 074FA11E
	v_cndmask_b32_e64 v28, v208, v210, s[78:79]                // 00000000847C: D100001C 013BA5D0
	v_lshrrev_b32_e32 v28, 16, v28                             // 000000008484: 20383890
	v_cmp_u_f32_e64 s[78:79], v31, v31                         // 000000008488: D048004E 00023F1F
	v_bfe_u32 v208, v31, 16, 1                                 // 000000008490: D1C800D0 0205211F
	v_add3_u32 v208, v31, v208, v211                           // 000000008498: D1FF00D0 074FA11F
	v_cndmask_b32_e64 v29, v208, v210, s[78:79]                // 0000000084A0: D100001D 013BA5D0
	v_and_or_b32 v161, v29, v209, v28                          // 0000000084A8: D20100A1 0473A31D
	v_mov_b32_e32 v30, v164                                    // 0000000084B0: 7E3C03A4
	v_mov_b32_e32 v31, v165                                    // 0000000084B4: 7E3E03A5
	v_cmp_u_f32_e64 s[78:79], v30, v30                         // 0000000084B8: D048004E 00023D1E
	v_bfe_u32 v208, v30, 16, 1                                 // 0000000084C0: D1C800D0 0205211E
	v_add3_u32 v208, v30, v208, v211                           // 0000000084C8: D1FF00D0 074FA11E
	v_cndmask_b32_e64 v28, v208, v210, s[78:79]                // 0000000084D0: D100001C 013BA5D0
	v_lshrrev_b32_e32 v28, 16, v28                             // 0000000084D8: 20383890
	v_cmp_u_f32_e64 s[78:79], v31, v31                         // 0000000084DC: D048004E 00023F1F
	v_bfe_u32 v208, v31, 16, 1                                 // 0000000084E4: D1C800D0 0205211F
	v_add3_u32 v208, v31, v208, v211                           // 0000000084EC: D1FF00D0 074FA11F
	v_cndmask_b32_e64 v29, v208, v210, s[78:79]                // 0000000084F4: D100001D 013BA5D0
	v_and_or_b32 v162, v29, v209, v28                          // 0000000084FC: D20100A2 0473A31D
	v_mov_b32_e32 v30, v166                                    // 000000008504: 7E3C03A6
	v_mov_b32_e32 v31, v167                                    // 000000008508: 7E3E03A7
	v_cmp_u_f32_e64 s[78:79], v30, v30                         // 00000000850C: D048004E 00023D1E
	v_bfe_u32 v208, v30, 16, 1                                 // 000000008514: D1C800D0 0205211E
	v_add3_u32 v208, v30, v208, v211                           // 00000000851C: D1FF00D0 074FA11E
	v_cndmask_b32_e64 v28, v208, v210, s[78:79]                // 000000008524: D100001C 013BA5D0
	v_lshrrev_b32_e32 v28, 16, v28                             // 00000000852C: 20383890
	v_cmp_u_f32_e64 s[78:79], v31, v31                         // 000000008530: D048004E 00023F1F
	v_bfe_u32 v208, v31, 16, 1                                 // 000000008538: D1C800D0 0205211F
	v_add3_u32 v208, v31, v208, v211                           // 000000008540: D1FF00D0 074FA11F
	v_cndmask_b32_e64 v29, v208, v210, s[78:79]                // 000000008548: D100001D 013BA5D0
	v_and_or_b32 v163, v29, v209, v28                          // 000000008550: D20100A3 0473A31D
	v_mov_b32_e32 v30, v168                                    // 000000008558: 7E3C03A8
	v_mov_b32_e32 v31, v169                                    // 00000000855C: 7E3E03A9
	v_cmp_u_f32_e64 s[78:79], v30, v30                         // 000000008560: D048004E 00023D1E
	v_bfe_u32 v208, v30, 16, 1                                 // 000000008568: D1C800D0 0205211E
	v_add3_u32 v208, v30, v208, v211                           // 000000008570: D1FF00D0 074FA11E
	v_cndmask_b32_e64 v28, v208, v210, s[78:79]                // 000000008578: D100001C 013BA5D0
	v_lshrrev_b32_e32 v28, 16, v28                             // 000000008580: 20383890
	v_cmp_u_f32_e64 s[78:79], v31, v31                         // 000000008584: D048004E 00023F1F
	v_bfe_u32 v208, v31, 16, 1                                 // 00000000858C: D1C800D0 0205211F
	v_add3_u32 v208, v31, v208, v211                           // 000000008594: D1FF00D0 074FA11F
	v_cndmask_b32_e64 v29, v208, v210, s[78:79]                // 00000000859C: D100001D 013BA5D0
	v_and_or_b32 v164, v29, v209, v28                          // 0000000085A4: D20100A4 0473A31D
	v_mov_b32_e32 v30, v170                                    // 0000000085AC: 7E3C03AA
	v_mov_b32_e32 v31, v171                                    // 0000000085B0: 7E3E03AB
	v_cmp_u_f32_e64 s[78:79], v30, v30                         // 0000000085B4: D048004E 00023D1E
	v_bfe_u32 v208, v30, 16, 1                                 // 0000000085BC: D1C800D0 0205211E
	v_add3_u32 v208, v30, v208, v211                           // 0000000085C4: D1FF00D0 074FA11E
	v_cndmask_b32_e64 v28, v208, v210, s[78:79]                // 0000000085CC: D100001C 013BA5D0
	v_lshrrev_b32_e32 v28, 16, v28                             // 0000000085D4: 20383890
	v_cmp_u_f32_e64 s[78:79], v31, v31                         // 0000000085D8: D048004E 00023F1F
	v_bfe_u32 v208, v31, 16, 1                                 // 0000000085E0: D1C800D0 0205211F
	v_add3_u32 v208, v31, v208, v211                           // 0000000085E8: D1FF00D0 074FA11F
	v_cndmask_b32_e64 v29, v208, v210, s[78:79]                // 0000000085F0: D100001D 013BA5D0
	v_and_or_b32 v165, v29, v209, v28                          // 0000000085F8: D20100A5 0473A31D
	v_mov_b32_e32 v30, v172                                    // 000000008600: 7E3C03AC
	v_mov_b32_e32 v31, v173                                    // 000000008604: 7E3E03AD
	v_cmp_u_f32_e64 s[78:79], v30, v30                         // 000000008608: D048004E 00023D1E
	v_bfe_u32 v208, v30, 16, 1                                 // 000000008610: D1C800D0 0205211E
	v_add3_u32 v208, v30, v208, v211                           // 000000008618: D1FF00D0 074FA11E
	v_cndmask_b32_e64 v28, v208, v210, s[78:79]                // 000000008620: D100001C 013BA5D0
	v_lshrrev_b32_e32 v28, 16, v28                             // 000000008628: 20383890
	v_cmp_u_f32_e64 s[78:79], v31, v31                         // 00000000862C: D048004E 00023F1F
	v_bfe_u32 v208, v31, 16, 1                                 // 000000008634: D1C800D0 0205211F
	v_add3_u32 v208, v31, v208, v211                           // 00000000863C: D1FF00D0 074FA11F
	v_cndmask_b32_e64 v29, v208, v210, s[78:79]                // 000000008644: D100001D 013BA5D0
	v_and_or_b32 v166, v29, v209, v28                          // 00000000864C: D20100A6 0473A31D
	v_mov_b32_e32 v30, v174                                    // 000000008654: 7E3C03AE
	v_mov_b32_e32 v31, v175                                    // 000000008658: 7E3E03AF
	v_cmp_u_f32_e64 s[78:79], v30, v30                         // 00000000865C: D048004E 00023D1E
	v_bfe_u32 v208, v30, 16, 1                                 // 000000008664: D1C800D0 0205211E
	v_add3_u32 v208, v30, v208, v211                           // 00000000866C: D1FF00D0 074FA11E
	v_cndmask_b32_e64 v28, v208, v210, s[78:79]                // 000000008674: D100001C 013BA5D0
	v_lshrrev_b32_e32 v28, 16, v28                             // 00000000867C: 20383890
	v_cmp_u_f32_e64 s[78:79], v31, v31                         // 000000008680: D048004E 00023F1F
	v_bfe_u32 v208, v31, 16, 1                                 // 000000008688: D1C800D0 0205211F
	v_add3_u32 v208, v31, v208, v211                           // 000000008690: D1FF00D0 074FA11F
	v_cndmask_b32_e64 v29, v208, v210, s[78:79]                // 000000008698: D100001D 013BA5D0
	v_and_or_b32 v167, v29, v209, v28                          // 0000000086A0: D20100A7 0473A31D
	v_mov_b32_e32 v30, v176                                    // 0000000086A8: 7E3C03B0
	v_mov_b32_e32 v31, v177                                    // 0000000086AC: 7E3E03B1
	v_cmp_u_f32_e64 s[78:79], v30, v30                         // 0000000086B0: D048004E 00023D1E
	v_bfe_u32 v208, v30, 16, 1                                 // 0000000086B8: D1C800D0 0205211E
	v_add3_u32 v208, v30, v208, v211                           // 0000000086C0: D1FF00D0 074FA11E
	v_cndmask_b32_e64 v28, v208, v210, s[78:79]                // 0000000086C8: D100001C 013BA5D0
	v_lshrrev_b32_e32 v28, 16, v28                             // 0000000086D0: 20383890
	v_cmp_u_f32_e64 s[78:79], v31, v31                         // 0000000086D4: D048004E 00023F1F
	v_bfe_u32 v208, v31, 16, 1                                 // 0000000086DC: D1C800D0 0205211F
	v_add3_u32 v208, v31, v208, v211                           // 0000000086E4: D1FF00D0 074FA11F
	v_cndmask_b32_e64 v29, v208, v210, s[78:79]                // 0000000086EC: D100001D 013BA5D0
	v_and_or_b32 v168, v29, v209, v28                          // 0000000086F4: D20100A8 0473A31D
	v_mov_b32_e32 v30, v178                                    // 0000000086FC: 7E3C03B2
	v_mov_b32_e32 v31, v179                                    // 000000008700: 7E3E03B3
	v_cmp_u_f32_e64 s[78:79], v30, v30                         // 000000008704: D048004E 00023D1E
	v_bfe_u32 v208, v30, 16, 1                                 // 00000000870C: D1C800D0 0205211E
	v_add3_u32 v208, v30, v208, v211                           // 000000008714: D1FF00D0 074FA11E
	v_cndmask_b32_e64 v28, v208, v210, s[78:79]                // 00000000871C: D100001C 013BA5D0
	v_lshrrev_b32_e32 v28, 16, v28                             // 000000008724: 20383890
	v_cmp_u_f32_e64 s[78:79], v31, v31                         // 000000008728: D048004E 00023F1F
	v_bfe_u32 v208, v31, 16, 1                                 // 000000008730: D1C800D0 0205211F
	v_add3_u32 v208, v31, v208, v211                           // 000000008738: D1FF00D0 074FA11F
	v_cndmask_b32_e64 v29, v208, v210, s[78:79]                // 000000008740: D100001D 013BA5D0
	v_and_or_b32 v169, v29, v209, v28                          // 000000008748: D20100A9 0473A31D
	v_mov_b32_e32 v30, v180                                    // 000000008750: 7E3C03B4
	v_mov_b32_e32 v31, v181                                    // 000000008754: 7E3E03B5
	v_cmp_u_f32_e64 s[78:79], v30, v30                         // 000000008758: D048004E 00023D1E
	v_bfe_u32 v208, v30, 16, 1                                 // 000000008760: D1C800D0 0205211E
	v_add3_u32 v208, v30, v208, v211                           // 000000008768: D1FF00D0 074FA11E
	v_cndmask_b32_e64 v28, v208, v210, s[78:79]                // 000000008770: D100001C 013BA5D0
	v_lshrrev_b32_e32 v28, 16, v28                             // 000000008778: 20383890
	v_cmp_u_f32_e64 s[78:79], v31, v31                         // 00000000877C: D048004E 00023F1F
	v_bfe_u32 v208, v31, 16, 1                                 // 000000008784: D1C800D0 0205211F
	v_add3_u32 v208, v31, v208, v211                           // 00000000878C: D1FF00D0 074FA11F
	v_cndmask_b32_e64 v29, v208, v210, s[78:79]                // 000000008794: D100001D 013BA5D0
	v_and_or_b32 v170, v29, v209, v28                          // 00000000879C: D20100AA 0473A31D
	v_mov_b32_e32 v30, v182                                    // 0000000087A4: 7E3C03B6
	v_mov_b32_e32 v31, v183                                    // 0000000087A8: 7E3E03B7
	v_cmp_u_f32_e64 s[78:79], v30, v30                         // 0000000087AC: D048004E 00023D1E
	v_bfe_u32 v208, v30, 16, 1                                 // 0000000087B4: D1C800D0 0205211E
	v_add3_u32 v208, v30, v208, v211                           // 0000000087BC: D1FF00D0 074FA11E
	v_cndmask_b32_e64 v28, v208, v210, s[78:79]                // 0000000087C4: D100001C 013BA5D0
	v_lshrrev_b32_e32 v28, 16, v28                             // 0000000087CC: 20383890
	v_cmp_u_f32_e64 s[78:79], v31, v31                         // 0000000087D0: D048004E 00023F1F
	v_bfe_u32 v208, v31, 16, 1                                 // 0000000087D8: D1C800D0 0205211F
	v_add3_u32 v208, v31, v208, v211                           // 0000000087E0: D1FF00D0 074FA11F
	v_cndmask_b32_e64 v29, v208, v210, s[78:79]                // 0000000087E8: D100001D 013BA5D0
	v_and_or_b32 v171, v29, v209, v28                          // 0000000087F0: D20100AB 0473A31D
	v_mov_b32_e32 v30, v184                                    // 0000000087F8: 7E3C03B8
	v_mov_b32_e32 v31, v185                                    // 0000000087FC: 7E3E03B9
	v_cmp_u_f32_e64 s[78:79], v30, v30                         // 000000008800: D048004E 00023D1E
	v_bfe_u32 v208, v30, 16, 1                                 // 000000008808: D1C800D0 0205211E
	v_add3_u32 v208, v30, v208, v211                           // 000000008810: D1FF00D0 074FA11E
	v_cndmask_b32_e64 v28, v208, v210, s[78:79]                // 000000008818: D100001C 013BA5D0
	v_lshrrev_b32_e32 v28, 16, v28                             // 000000008820: 20383890
	v_cmp_u_f32_e64 s[78:79], v31, v31                         // 000000008824: D048004E 00023F1F
	v_bfe_u32 v208, v31, 16, 1                                 // 00000000882C: D1C800D0 0205211F
	v_add3_u32 v208, v31, v208, v211                           // 000000008834: D1FF00D0 074FA11F
	v_cndmask_b32_e64 v29, v208, v210, s[78:79]                // 00000000883C: D100001D 013BA5D0
	v_and_or_b32 v172, v29, v209, v28                          // 000000008844: D20100AC 0473A31D
	v_mov_b32_e32 v30, v186                                    // 00000000884C: 7E3C03BA
	v_mov_b32_e32 v31, v187                                    // 000000008850: 7E3E03BB
	v_cmp_u_f32_e64 s[78:79], v30, v30                         // 000000008854: D048004E 00023D1E
	v_bfe_u32 v208, v30, 16, 1                                 // 00000000885C: D1C800D0 0205211E
	v_add3_u32 v208, v30, v208, v211                           // 000000008864: D1FF00D0 074FA11E
	v_cndmask_b32_e64 v28, v208, v210, s[78:79]                // 00000000886C: D100001C 013BA5D0
	v_lshrrev_b32_e32 v28, 16, v28                             // 000000008874: 20383890
	v_cmp_u_f32_e64 s[78:79], v31, v31                         // 000000008878: D048004E 00023F1F
	v_bfe_u32 v208, v31, 16, 1                                 // 000000008880: D1C800D0 0205211F
	v_add3_u32 v208, v31, v208, v211                           // 000000008888: D1FF00D0 074FA11F
	v_cndmask_b32_e64 v29, v208, v210, s[78:79]                // 000000008890: D100001D 013BA5D0
	v_and_or_b32 v173, v29, v209, v28                          // 000000008898: D20100AD 0473A31D
	v_mov_b32_e32 v30, v188                                    // 0000000088A0: 7E3C03BC
	v_mov_b32_e32 v31, v189                                    // 0000000088A4: 7E3E03BD
	v_cmp_u_f32_e64 s[78:79], v30, v30                         // 0000000088A8: D048004E 00023D1E
	v_bfe_u32 v208, v30, 16, 1                                 // 0000000088B0: D1C800D0 0205211E
	v_add3_u32 v208, v30, v208, v211                           // 0000000088B8: D1FF00D0 074FA11E
	v_cndmask_b32_e64 v28, v208, v210, s[78:79]                // 0000000088C0: D100001C 013BA5D0
	v_lshrrev_b32_e32 v28, 16, v28                             // 0000000088C8: 20383890
	v_cmp_u_f32_e64 s[78:79], v31, v31                         // 0000000088CC: D048004E 00023F1F
	v_bfe_u32 v208, v31, 16, 1                                 // 0000000088D4: D1C800D0 0205211F
	v_add3_u32 v208, v31, v208, v211                           // 0000000088DC: D1FF00D0 074FA11F
	v_cndmask_b32_e64 v29, v208, v210, s[78:79]                // 0000000088E4: D100001D 013BA5D0
	v_and_or_b32 v174, v29, v209, v28                          // 0000000088EC: D20100AE 0473A31D
	v_mov_b32_e32 v30, v190                                    // 0000000088F4: 7E3C03BE
	v_mov_b32_e32 v31, v191                                    // 0000000088F8: 7E3E03BF
	v_cmp_u_f32_e64 s[78:79], v30, v30                         // 0000000088FC: D048004E 00023D1E
	v_bfe_u32 v208, v30, 16, 1                                 // 000000008904: D1C800D0 0205211E
	v_add3_u32 v208, v30, v208, v211                           // 00000000890C: D1FF00D0 074FA11E
	v_cndmask_b32_e64 v28, v208, v210, s[78:79]                // 000000008914: D100001C 013BA5D0
	v_lshrrev_b32_e32 v28, 16, v28                             // 00000000891C: 20383890
	v_cmp_u_f32_e64 s[78:79], v31, v31                         // 000000008920: D048004E 00023F1F
	v_bfe_u32 v208, v31, 16, 1                                 // 000000008928: D1C800D0 0205211F
	v_add3_u32 v208, v31, v208, v211                           // 000000008930: D1FF00D0 074FA11F
	v_cndmask_b32_e64 v29, v208, v210, s[78:79]                // 000000008938: D100001D 013BA5D0
	v_and_or_b32 v175, v29, v209, v28                          // 000000008940: D20100AF 0473A31D
	v_mov_b32_e32 v30, v192                                    // 000000008948: 7E3C03C0
	v_mov_b32_e32 v31, v193                                    // 00000000894C: 7E3E03C1
	v_cmp_u_f32_e64 s[78:79], v30, v30                         // 000000008950: D048004E 00023D1E
	v_bfe_u32 v208, v30, 16, 1                                 // 000000008958: D1C800D0 0205211E
	v_add3_u32 v208, v30, v208, v211                           // 000000008960: D1FF00D0 074FA11E
	v_cndmask_b32_e64 v28, v208, v210, s[78:79]                // 000000008968: D100001C 013BA5D0
	v_lshrrev_b32_e32 v28, 16, v28                             // 000000008970: 20383890
	v_cmp_u_f32_e64 s[78:79], v31, v31                         // 000000008974: D048004E 00023F1F
	v_bfe_u32 v208, v31, 16, 1                                 // 00000000897C: D1C800D0 0205211F
	v_add3_u32 v208, v31, v208, v211                           // 000000008984: D1FF00D0 074FA11F
	v_cndmask_b32_e64 v29, v208, v210, s[78:79]                // 00000000898C: D100001D 013BA5D0
	v_and_or_b32 v176, v29, v209, v28                          // 000000008994: D20100B0 0473A31D
	v_mov_b32_e32 v30, v194                                    // 00000000899C: 7E3C03C2
	v_mov_b32_e32 v31, v195                                    // 0000000089A0: 7E3E03C3
	v_cmp_u_f32_e64 s[78:79], v30, v30                         // 0000000089A4: D048004E 00023D1E
	v_bfe_u32 v208, v30, 16, 1                                 // 0000000089AC: D1C800D0 0205211E
	v_add3_u32 v208, v30, v208, v211                           // 0000000089B4: D1FF00D0 074FA11E
	v_cndmask_b32_e64 v28, v208, v210, s[78:79]                // 0000000089BC: D100001C 013BA5D0
	v_lshrrev_b32_e32 v28, 16, v28                             // 0000000089C4: 20383890
	v_cmp_u_f32_e64 s[78:79], v31, v31                         // 0000000089C8: D048004E 00023F1F
	v_bfe_u32 v208, v31, 16, 1                                 // 0000000089D0: D1C800D0 0205211F
	v_add3_u32 v208, v31, v208, v211                           // 0000000089D8: D1FF00D0 074FA11F
	v_cndmask_b32_e64 v29, v208, v210, s[78:79]                // 0000000089E0: D100001D 013BA5D0
	v_and_or_b32 v177, v29, v209, v28                          // 0000000089E8: D20100B1 0473A31D
	v_mov_b32_e32 v30, v196                                    // 0000000089F0: 7E3C03C4
	v_mov_b32_e32 v31, v197                                    // 0000000089F4: 7E3E03C5
	v_cmp_u_f32_e64 s[78:79], v30, v30                         // 0000000089F8: D048004E 00023D1E
	v_bfe_u32 v208, v30, 16, 1                                 // 000000008A00: D1C800D0 0205211E
	v_add3_u32 v208, v30, v208, v211                           // 000000008A08: D1FF00D0 074FA11E
	v_cndmask_b32_e64 v28, v208, v210, s[78:79]                // 000000008A10: D100001C 013BA5D0
	v_lshrrev_b32_e32 v28, 16, v28                             // 000000008A18: 20383890
	v_cmp_u_f32_e64 s[78:79], v31, v31                         // 000000008A1C: D048004E 00023F1F
	v_bfe_u32 v208, v31, 16, 1                                 // 000000008A24: D1C800D0 0205211F
	v_add3_u32 v208, v31, v208, v211                           // 000000008A2C: D1FF00D0 074FA11F
	v_cndmask_b32_e64 v29, v208, v210, s[78:79]                // 000000008A34: D100001D 013BA5D0
	v_and_or_b32 v178, v29, v209, v28                          // 000000008A3C: D20100B2 0473A31D
	v_mov_b32_e32 v30, v198                                    // 000000008A44: 7E3C03C6
	v_mov_b32_e32 v31, v199                                    // 000000008A48: 7E3E03C7
	v_cmp_u_f32_e64 s[78:79], v30, v30                         // 000000008A4C: D048004E 00023D1E
	v_bfe_u32 v208, v30, 16, 1                                 // 000000008A54: D1C800D0 0205211E
	v_add3_u32 v208, v30, v208, v211                           // 000000008A5C: D1FF00D0 074FA11E
	v_cndmask_b32_e64 v28, v208, v210, s[78:79]                // 000000008A64: D100001C 013BA5D0
	v_lshrrev_b32_e32 v28, 16, v28                             // 000000008A6C: 20383890
	v_cmp_u_f32_e64 s[78:79], v31, v31                         // 000000008A70: D048004E 00023F1F
	v_bfe_u32 v208, v31, 16, 1                                 // 000000008A78: D1C800D0 0205211F
	v_add3_u32 v208, v31, v208, v211                           // 000000008A80: D1FF00D0 074FA11F
	v_cndmask_b32_e64 v29, v208, v210, s[78:79]                // 000000008A88: D100001D 013BA5D0
	v_and_or_b32 v179, v29, v209, v28                          // 000000008A90: D20100B3 0473A31D
	v_mov_b32_e32 v30, v200                                    // 000000008A98: 7E3C03C8
	v_mov_b32_e32 v31, v201                                    // 000000008A9C: 7E3E03C9
	v_cmp_u_f32_e64 s[78:79], v30, v30                         // 000000008AA0: D048004E 00023D1E
	v_bfe_u32 v208, v30, 16, 1                                 // 000000008AA8: D1C800D0 0205211E
	v_add3_u32 v208, v30, v208, v211                           // 000000008AB0: D1FF00D0 074FA11E
	v_cndmask_b32_e64 v28, v208, v210, s[78:79]                // 000000008AB8: D100001C 013BA5D0
	v_lshrrev_b32_e32 v28, 16, v28                             // 000000008AC0: 20383890
	v_cmp_u_f32_e64 s[78:79], v31, v31                         // 000000008AC4: D048004E 00023F1F
	v_bfe_u32 v208, v31, 16, 1                                 // 000000008ACC: D1C800D0 0205211F
	v_add3_u32 v208, v31, v208, v211                           // 000000008AD4: D1FF00D0 074FA11F
	v_cndmask_b32_e64 v29, v208, v210, s[78:79]                // 000000008ADC: D100001D 013BA5D0
	v_and_or_b32 v180, v29, v209, v28                          // 000000008AE4: D20100B4 0473A31D
	v_mov_b32_e32 v30, v202                                    // 000000008AEC: 7E3C03CA
	v_mov_b32_e32 v31, v203                                    // 000000008AF0: 7E3E03CB
	v_cmp_u_f32_e64 s[78:79], v30, v30                         // 000000008AF4: D048004E 00023D1E
	v_bfe_u32 v208, v30, 16, 1                                 // 000000008AFC: D1C800D0 0205211E
	v_add3_u32 v208, v30, v208, v211                           // 000000008B04: D1FF00D0 074FA11E
	v_cndmask_b32_e64 v28, v208, v210, s[78:79]                // 000000008B0C: D100001C 013BA5D0
	v_lshrrev_b32_e32 v28, 16, v28                             // 000000008B14: 20383890
	v_cmp_u_f32_e64 s[78:79], v31, v31                         // 000000008B18: D048004E 00023F1F
	v_bfe_u32 v208, v31, 16, 1                                 // 000000008B20: D1C800D0 0205211F
	v_add3_u32 v208, v31, v208, v211                           // 000000008B28: D1FF00D0 074FA11F
	v_cndmask_b32_e64 v29, v208, v210, s[78:79]                // 000000008B30: D100001D 013BA5D0
	v_and_or_b32 v181, v29, v209, v28                          // 000000008B38: D20100B5 0473A31D
	v_mov_b32_e32 v30, v204                                    // 000000008B40: 7E3C03CC
	v_mov_b32_e32 v31, v205                                    // 000000008B44: 7E3E03CD
	v_cmp_u_f32_e64 s[78:79], v30, v30                         // 000000008B48: D048004E 00023D1E
	v_bfe_u32 v208, v30, 16, 1                                 // 000000008B50: D1C800D0 0205211E
	v_add3_u32 v208, v30, v208, v211                           // 000000008B58: D1FF00D0 074FA11E
	v_cndmask_b32_e64 v28, v208, v210, s[78:79]                // 000000008B60: D100001C 013BA5D0
	v_lshrrev_b32_e32 v28, 16, v28                             // 000000008B68: 20383890
	v_cmp_u_f32_e64 s[78:79], v31, v31                         // 000000008B6C: D048004E 00023F1F
	v_bfe_u32 v208, v31, 16, 1                                 // 000000008B74: D1C800D0 0205211F
	v_add3_u32 v208, v31, v208, v211                           // 000000008B7C: D1FF00D0 074FA11F
	v_cndmask_b32_e64 v29, v208, v210, s[78:79]                // 000000008B84: D100001D 013BA5D0
	v_and_or_b32 v182, v29, v209, v28                          // 000000008B8C: D20100B6 0473A31D
	v_mov_b32_e32 v30, v206                                    // 000000008B94: 7E3C03CE
	v_mov_b32_e32 v31, v207                                    // 000000008B98: 7E3E03CF
	v_cmp_u_f32_e64 s[78:79], v30, v30                         // 000000008B9C: D048004E 00023D1E
	v_bfe_u32 v208, v30, 16, 1                                 // 000000008BA4: D1C800D0 0205211E
	v_add3_u32 v208, v30, v208, v211                           // 000000008BAC: D1FF00D0 074FA11E
	v_cndmask_b32_e64 v28, v208, v210, s[78:79]                // 000000008BB4: D100001C 013BA5D0
	v_lshrrev_b32_e32 v28, 16, v28                             // 000000008BBC: 20383890
	v_cmp_u_f32_e64 s[78:79], v31, v31                         // 000000008BC0: D048004E 00023F1F
	v_bfe_u32 v208, v31, 16, 1                                 // 000000008BC8: D1C800D0 0205211F
	v_add3_u32 v208, v31, v208, v211                           // 000000008BD0: D1FF00D0 074FA11F
	v_cndmask_b32_e64 v29, v208, v210, s[78:79]                // 000000008BD8: D100001D 013BA5D0
	v_and_or_b32 v183, v29, v209, v28                          // 000000008BE0: D20100B7 0473A31D
	ds_write_b64 v25, v[160:161]                               // 000000008BE8: D89A0000 0000A019
	ds_write_b64 v25, v[162:163] offset:544                    // 000000008BF0: D89A0220 0000A219
	ds_write_b64 v25, v[164:165] offset:1088                   // 000000008BF8: D89A0440 0000A419
	ds_write_b64 v25, v[166:167] offset:1632                   // 000000008C00: D89A0660 0000A619
	ds_write_b64 v25, v[168:169] offset:2176                   // 000000008C08: D89A0880 0000A819
	ds_write_b64 v25, v[170:171] offset:2720                   // 000000008C10: D89A0AA0 0000AA19
	ds_write_b64 v25, v[172:173] offset:3264                   // 000000008C18: D89A0CC0 0000AC19
	ds_write_b64 v25, v[174:175] offset:3808                   // 000000008C20: D89A0EE0 0000AE19
	ds_write_b64 v25, v[176:177] offset:4352                   // 000000008C28: D89A1100 0000B019
	ds_write_b64 v25, v[178:179] offset:4896                   // 000000008C30: D89A1320 0000B219
	ds_write_b64 v25, v[180:181] offset:5440                   // 000000008C38: D89A1540 0000B419
	ds_write_b64 v25, v[182:183] offset:5984                   // 000000008C40: D89A1760 0000B619
	s_waitcnt lgkmcnt(0)                                       // 000000008C48: BF8CC07F
	s_barrier                                                  // 000000008C4C: BF8A0000
	ds_read_b64 v[160:161], v24                                // 000000008C50: D8EC0000 A0000018
	ds_read_b64 v[162:163], v24 offset:128                     // 000000008C58: D8EC0080 A2000018
	ds_read_b64 v[164:165], v24 offset:64                      // 000000008C60: D8EC0040 A4000018
	ds_read_b64 v[166:167], v24 offset:192                     // 000000008C68: D8EC00C0 A6000018
	ds_read_b64 v[168:169], v24 offset:2176                    // 000000008C70: D8EC0880 A8000018
	ds_read_b64 v[170:171], v24 offset:2304                    // 000000008C78: D8EC0900 AA000018
	ds_read_b64 v[172:173], v24 offset:2240                    // 000000008C80: D8EC08C0 AC000018
	ds_read_b64 v[174:175], v24 offset:2368                    // 000000008C88: D8EC0940 AE000018
	ds_read_b64 v[176:177], v24 offset:4352                    // 000000008C90: D8EC1100 B0000018
	ds_read_b64 v[178:179], v24 offset:4480                    // 000000008C98: D8EC1180 B2000018
	ds_read_b64 v[180:181], v24 offset:4416                    // 000000008CA0: D8EC1140 B4000018
	ds_read_b64 v[182:183], v24 offset:4544                    // 000000008CA8: D8EC11C0 B6000018
	s_waitcnt lgkmcnt(0)                                       // 000000008CB0: BF8CC07F
	buffer_store_dwordx4 v[160:163], v5, s[40:43], 0 idxen     // 000000008CB4: E07C2000 800AA005
	v_add_u32_e32 v5, 32, v5                                   // 000000008CBC: 680A0AA0
	buffer_store_dwordx4 v[164:167], v6, s[40:43], 0 idxen     // 000000008CC0: E07C2000 800AA406
	v_add_u32_e32 v6, 32, v6                                   // 000000008CC8: 680C0CA0
	buffer_store_dwordx4 v[168:171], v5, s[40:43], 0 idxen     // 000000008CCC: E07C2000 800AA805
	v_add_u32_e32 v5, 32, v5                                   // 000000008CD4: 680A0AA0
	buffer_store_dwordx4 v[172:175], v6, s[40:43], 0 idxen     // 000000008CD8: E07C2000 800AAC06
	v_add_u32_e32 v6, 32, v6                                   // 000000008CE0: 680C0CA0
	s_mov_b64 exec, s[92:93]                                   // 000000008CE4: BEFE015C
	buffer_store_dwordx4 v[176:179], v5, s[40:43], 0 idxen     // 000000008CE8: E07C2000 800AB005
	s_mov_b32 exec_lo, -1                                      // 000000008CF0: BEFE00C1
	s_mov_b32 exec_hi, -1                                      // 000000008CF4: BEFF00C1
	v_add_u32_e32 v5, 32, v5                                   // 000000008CF8: 680A0AA0
	s_mov_b64 exec, s[92:93]                                   // 000000008CFC: BEFE015C
	buffer_store_dwordx4 v[180:183], v6, s[40:43], 0 idxen     // 000000008D00: E07C2000 800AB406
	s_mov_b32 exec_lo, -1                                      // 000000008D08: BEFE00C1
	s_mov_b32 exec_hi, -1                                      // 000000008D0C: BEFF00C1
	v_add_u32_e32 v6, 32, v6                                   // 000000008D10: 680C0CA0
	s_waitcnt vmcnt(0) expcnt(0) lgkmcnt(0)                    // 000000008D14: BF8C0000
	s_sub_i32 s60, s77, 1                                      // 000000008D18: 81BC814D
	s_sub_i32 s2, s60, s2                                      // 000000008D1C: 8182023C
	s_addk_i32 s75, 0x1                                        // 000000008D20: B74B0001
	s_cmp_lt_i32 s75, s76                                      // 000000008D24: BF044C4B
	s_cbranch_scc1 label_0168                                  // 000000008D28: BF85EE1D
	s_endpgm                                                   // 000000008D2C: BF810000
